;; amdgpu-corpus repo=ROCm/rocFFT kind=compiled arch=gfx1030 opt=O3
	.text
	.amdgcn_target "amdgcn-amd-amdhsa--gfx1030"
	.amdhsa_code_object_version 6
	.protected	bluestein_single_fwd_len1836_dim1_dp_op_CI_CI ; -- Begin function bluestein_single_fwd_len1836_dim1_dp_op_CI_CI
	.globl	bluestein_single_fwd_len1836_dim1_dp_op_CI_CI
	.p2align	8
	.type	bluestein_single_fwd_len1836_dim1_dp_op_CI_CI,@function
bluestein_single_fwd_len1836_dim1_dp_op_CI_CI: ; @bluestein_single_fwd_len1836_dim1_dp_op_CI_CI
; %bb.0:
	v_mul_u32_u24_e32 v1, 0x1ad, v0
	s_mov_b64 s[62:63], s[2:3]
	s_mov_b64 s[60:61], s[0:1]
	s_load_dwordx4 s[0:3], s[4:5], 0x28
	s_add_u32 s60, s60, s7
	v_lshrrev_b32_e32 v1, 16, v1
	s_addc_u32 s61, s61, 0
	v_mov_b32_e32 v4, 0
	v_add_nc_u32_e32 v3, s6, v1
	v_mov_b32_e32 v2, v3
	buffer_store_dword v2, off, s[60:63], 0 ; 4-byte Folded Spill
	buffer_store_dword v3, off, s[60:63], 0 offset:4 ; 4-byte Folded Spill
	s_waitcnt lgkmcnt(0)
	v_cmp_gt_u64_e32 vcc_lo, s[0:1], v[3:4]
	s_and_saveexec_b32 s0, vcc_lo
	s_cbranch_execz .LBB0_15
; %bb.1:
	s_clause 0x1
	s_load_dwordx2 s[12:13], s[4:5], 0x0
	s_load_dwordx2 s[14:15], s[4:5], 0x38
	v_mul_lo_u16 v1, 0x99, v1
	v_sub_nc_u16 v0, v0, v1
	v_and_b32_e32 v206, 0xffff, v0
	v_cmp_gt_u16_e32 vcc_lo, 0x6c, v0
	v_lshlrev_b32_e32 v255, 4, v206
	s_and_saveexec_b32 s1, vcc_lo
	s_cbranch_execz .LBB0_3
; %bb.2:
	s_load_dwordx2 s[6:7], s[4:5], 0x18
	s_waitcnt lgkmcnt(0)
	s_clause 0x1
	global_load_dwordx4 v[0:3], v255, s[12:13]
	global_load_dwordx4 v[4:7], v255, s[12:13] offset:1728
	v_add_co_u32 v8, s0, s12, v255
	v_add_co_ci_u32_e64 v9, null, s13, 0, s0
	v_add_co_u32 v10, s0, 0x800, v8
	v_add_co_ci_u32_e64 v11, s0, 0, v9, s0
	v_add_co_u32 v14, s0, 0x1000, v8
	v_add_co_ci_u32_e64 v15, s0, 0, v9, s0
	;; [unrolled: 2-line block ×3, first 2 shown]
	v_add_co_u32 v22, s0, 0x2000, v8
	s_load_dwordx4 s[8:11], s[6:7], 0x0
	s_clause 0x1
	buffer_load_dword v12, off, s[60:63], 0
	buffer_load_dword v13, off, s[60:63], 0 offset:4
	v_add_co_ci_u32_e64 v23, s0, 0, v9, s0
	v_add_co_u32 v30, s0, 0x2800, v8
	v_add_co_ci_u32_e64 v31, s0, 0, v9, s0
	v_add_co_u32 v34, s0, 0x3000, v8
	;; [unrolled: 2-line block ×4, first 2 shown]
	v_add_co_ci_u32_e64 v45, s0, 0, v9, s0
	s_waitcnt lgkmcnt(0)
	v_mad_u64_u32 v[46:47], null, s8, v206, 0
	v_add_co_u32 v48, s0, 0x4800, v8
	v_add_co_ci_u32_e64 v49, s0, 0, v9, s0
	s_mul_i32 s6, s9, 0x6c0
	s_mul_hi_u32 s7, s8, 0x6c0
	v_mov_b32_e32 v20, v47
	s_add_i32 s7, s7, s6
	v_mad_u64_u32 v[50:51], null, s9, v206, v[20:21]
	v_mov_b32_e32 v47, v50
	v_lshlrev_b64 v[46:47], 4, v[46:47]
	s_waitcnt vmcnt(0)
	v_mov_b32_e32 v13, v12
	v_mad_u64_u32 v[42:43], null, s10, v13, 0
	v_mov_b32_e32 v12, v43
	v_mad_u64_u32 v[26:27], null, s11, v13, v[12:13]
	s_clause 0x3
	global_load_dwordx4 v[10:13], v[10:11], off offset:1408
	global_load_dwordx4 v[14:17], v[14:15], off offset:1088
	;; [unrolled: 1-line block ×4, first 2 shown]
	v_mov_b32_e32 v43, v26
	s_clause 0x3
	global_load_dwordx4 v[26:29], v[30:31], off offset:128
	global_load_dwordx4 v[30:33], v[30:31], off offset:1856
	;; [unrolled: 1-line block ×4, first 2 shown]
	v_lshlrev_b64 v[50:51], 4, v[42:43]
	global_load_dwordx4 v[42:45], v[44:45], off offset:896
	v_add_co_u32 v50, s0, s2, v50
	v_add_co_ci_u32_e64 v51, s0, s3, v51, s0
	s_mul_i32 s2, s8, 0x6c0
	v_add_co_u32 v50, s0, v50, v46
	v_add_co_ci_u32_e64 v51, s0, v51, v47, s0
	global_load_dwordx4 v[46:49], v[48:49], off offset:576
	v_add_co_u32 v54, s0, v50, s2
	v_add_co_ci_u32_e64 v55, s0, s7, v51, s0
	v_add_co_u32 v58, s0, v54, s2
	v_add_co_ci_u32_e64 v59, s0, s7, v55, s0
	s_clause 0x1
	global_load_dwordx4 v[50:53], v[50:51], off
	global_load_dwordx4 v[54:57], v[54:55], off
	v_add_co_u32 v62, s0, v58, s2
	v_add_co_ci_u32_e64 v63, s0, s7, v59, s0
	global_load_dwordx4 v[58:61], v[58:59], off
	v_add_co_u32 v66, s0, v62, s2
	v_add_co_ci_u32_e64 v67, s0, s7, v63, s0
	;; [unrolled: 3-line block ×11, first 2 shown]
	v_add_co_u32 v110, s0, 0x5000, v8
	v_add_co_ci_u32_e64 v111, s0, 0, v9, s0
	v_add_co_u32 v118, s0, v102, s2
	v_add_co_ci_u32_e64 v119, s0, s7, v103, s0
	;; [unrolled: 2-line block ×6, first 2 shown]
	v_add_co_u32 v134, s0, v122, s2
	global_load_dwordx4 v[98:101], v[98:99], off
	global_load_dwordx4 v[102:105], v[102:103], off
	s_clause 0x1
	global_load_dwordx4 v[106:109], v[110:111], off offset:256
	global_load_dwordx4 v[110:113], v[110:111], off offset:1984
	global_load_dwordx4 v[114:117], v[118:119], off
	v_add_co_ci_u32_e64 v135, s0, s7, v123, s0
	global_load_dwordx4 v[118:121], v[120:121], off offset:1664
	global_load_dwordx4 v[122:125], v[122:123], off
	s_clause 0x1
	global_load_dwordx4 v[126:129], v[126:127], off offset:1344
	global_load_dwordx4 v[130:133], v[8:9], off offset:1024
	global_load_dwordx4 v[134:137], v[134:135], off
	s_waitcnt vmcnt(21)
	v_mul_f64 v[8:9], v[52:53], v[2:3]
	v_mul_f64 v[2:3], v[50:51], v[2:3]
	s_waitcnt vmcnt(20)
	v_mul_f64 v[138:139], v[56:57], v[6:7]
	v_mul_f64 v[140:141], v[54:55], v[6:7]
	;; [unrolled: 3-line block ×6, first 2 shown]
	v_fma_f64 v[6:7], v[50:51], v[0:1], v[8:9]
	v_fma_f64 v[8:9], v[52:53], v[0:1], -v[2:3]
	v_fma_f64 v[0:1], v[54:55], v[4:5], v[138:139]
	v_fma_f64 v[2:3], v[56:57], v[4:5], -v[140:141]
	s_waitcnt vmcnt(15)
	v_mul_f64 v[4:5], v[76:77], v[28:29]
	v_mul_f64 v[28:29], v[74:75], v[28:29]
	v_fma_f64 v[50:51], v[58:59], v[10:11], v[142:143]
	v_fma_f64 v[52:53], v[60:61], v[10:11], -v[12:13]
	s_waitcnt vmcnt(14)
	v_mul_f64 v[54:55], v[80:81], v[32:33]
	v_mul_f64 v[32:33], v[78:79], v[32:33]
	;; [unrolled: 5-line block ×6, first 2 shown]
	v_fma_f64 v[26:27], v[78:79], v[30:31], v[54:55]
	v_fma_f64 v[28:29], v[80:81], v[30:31], -v[32:33]
	v_fma_f64 v[30:31], v[82:83], v[34:35], v[56:57]
	v_fma_f64 v[32:33], v[84:85], v[34:35], -v[36:37]
	;; [unrolled: 2-line block ×5, first 2 shown]
	s_waitcnt vmcnt(7)
	v_mul_f64 v[64:65], v[100:101], v[108:109]
	v_mul_f64 v[66:67], v[98:99], v[108:109]
	s_waitcnt vmcnt(6)
	v_mul_f64 v[68:69], v[104:105], v[112:113]
	v_mul_f64 v[70:71], v[102:103], v[112:113]
	;; [unrolled: 3-line block ×5, first 2 shown]
	v_fma_f64 v[46:47], v[98:99], v[106:107], v[64:65]
	v_fma_f64 v[48:49], v[100:101], v[106:107], -v[66:67]
	v_fma_f64 v[54:55], v[102:103], v[110:111], v[68:69]
	v_fma_f64 v[56:57], v[104:105], v[110:111], -v[70:71]
	;; [unrolled: 2-line block ×5, first 2 shown]
	ds_write_b128 v255, v[6:9]
	ds_write_b128 v255, v[0:3] offset:1728
	ds_write_b128 v255, v[50:53] offset:3456
	;; [unrolled: 1-line block ×16, first 2 shown]
.LBB0_3:
	s_or_b32 exec_lo, exec_lo, s1
	s_clause 0x1
	s_load_dwordx2 s[0:1], s[4:5], 0x20
	s_load_dwordx2 s[2:3], s[4:5], 0x8
	s_waitcnt lgkmcnt(0)
	s_waitcnt_vscnt null, 0x0
	s_barrier
	buffer_gl0_inv
                                        ; implicit-def: $vgpr20_vgpr21
                                        ; implicit-def: $vgpr40_vgpr41
                                        ; implicit-def: $vgpr44_vgpr45
                                        ; implicit-def: $vgpr52_vgpr53
                                        ; implicit-def: $vgpr56_vgpr57
                                        ; implicit-def: $vgpr60_vgpr61
                                        ; implicit-def: $vgpr68_vgpr69
                                        ; implicit-def: $vgpr72_vgpr73
                                        ; implicit-def: $vgpr76_vgpr77
                                        ; implicit-def: $vgpr80_vgpr81
                                        ; implicit-def: $vgpr84_vgpr85
                                        ; implicit-def: $vgpr64_vgpr65
                                        ; implicit-def: $vgpr48_vgpr49
                                        ; implicit-def: $vgpr36_vgpr37
                                        ; implicit-def: $vgpr32_vgpr33
                                        ; implicit-def: $vgpr28_vgpr29
                                        ; implicit-def: $vgpr24_vgpr25
	s_and_saveexec_b32 s4, vcc_lo
	s_cbranch_execz .LBB0_5
; %bb.4:
	ds_read_b128 v[20:23], v255
	ds_read_b128 v[40:43], v255 offset:1728
	ds_read_b128 v[44:47], v255 offset:3456
	;; [unrolled: 1-line block ×16, first 2 shown]
.LBB0_5:
	s_or_b32 exec_lo, exec_lo, s4
	s_waitcnt lgkmcnt(0)
	v_add_f64 v[146:147], v[42:43], -v[26:27]
	v_add_f64 v[158:159], v[40:41], -v[24:25]
	s_mov_b32 s4, 0x5d8e7cdc
	s_mov_b32 s5, 0xbfd71e95
	v_add_f64 v[94:95], v[52:53], -v[32:33]
	s_mov_b32 s6, 0x7c9e640b
	s_mov_b32 s7, 0xbfeca52d
	v_add_f64 v[106:107], v[58:59], -v[38:39]
	v_add_f64 v[104:105], v[56:57], -v[36:37]
	s_mov_b32 s20, 0xeb564b22
	s_mov_b32 s21, 0xbfefdd0d
	v_add_f64 v[144:145], v[40:41], v[24:25]
	v_add_f64 v[96:97], v[46:47], -v[30:31]
	v_add_f64 v[156:157], v[42:43], v[26:27]
	v_add_f64 v[90:91], v[44:45], -v[28:29]
	s_mov_b32 s16, 0x370991
	s_mov_b32 s8, 0x2a9d6da3
	;; [unrolled: 1-line block ×4, first 2 shown]
	v_add_f64 v[88:89], v[44:45], v[28:29]
	v_add_f64 v[102:103], v[46:47], v[30:31]
	s_mov_b32 s10, 0x75d4884
	v_mul_f64 v[0:1], v[146:147], s[4:5]
	v_mul_f64 v[2:3], v[158:159], s[4:5]
	s_mov_b32 s11, 0x3fe7a5f6
	v_add_f64 v[110:111], v[54:55], v[34:35]
	v_mul_f64 v[18:19], v[94:95], s[6:7]
	s_mov_b32 s18, 0x2b2883cd
	s_mov_b32 s19, 0x3fdc86fa
	v_mul_f64 v[16:17], v[106:107], s[20:21]
	v_mul_f64 v[108:109], v[104:105], s[20:21]
	v_add_f64 v[124:125], v[58:59], v[38:39]
	s_mov_b32 s22, 0x3259b75e
	s_mov_b32 s23, 0x3fb79ee6
	v_mul_f64 v[10:11], v[96:97], s[8:9]
	v_add_f64 v[126:127], v[62:63], -v[50:51]
	v_mul_f64 v[14:15], v[90:91], s[8:9]
	s_mov_b32 s26, 0x923c349f
	s_mov_b32 s27, 0xbfeec746
	v_add_f64 v[100:101], v[54:55], -v[34:35]
	v_add_f64 v[92:93], v[52:53], v[32:33]
	v_add_f64 v[98:99], v[56:57], v[36:37]
	s_mov_b32 s24, 0xc61f0d01
	s_mov_b32 s25, 0xbfd183b1
	buffer_store_dword v0, off, s[60:63], 0 offset:72 ; 4-byte Folded Spill
	buffer_store_dword v1, off, s[60:63], 0 offset:76 ; 4-byte Folded Spill
	;; [unrolled: 1-line block ×10, first 2 shown]
	v_add_f64 v[118:119], v[60:61], -v[48:49]
	v_add_f64 v[142:143], v[62:63], v[50:51]
	v_add_f64 v[120:121], v[70:71], -v[66:67]
	v_fma_f64 v[4:5], v[88:89], s[10:11], v[10:11]
	s_mov_b32 s34, 0x6c9a05f6
	v_fma_f64 v[6:7], v[102:103], s[10:11], -v[14:15]
	s_mov_b32 s35, 0xbfe9895b
	v_add_f64 v[116:117], v[68:69], v[64:65]
	v_mul_f64 v[12:13], v[100:101], s[6:7]
	s_mov_b32 s30, 0x6ed5f1bb
	s_mov_b32 s31, 0xbfe348c8
	v_add_f64 v[130:131], v[68:69], -v[64:65]
	v_add_f64 v[136:137], v[70:71], v[66:67]
	v_add_f64 v[132:133], v[74:75], -v[86:87]
	s_mov_b32 s40, 0x4363dd80
	s_mov_b32 s41, 0x3fe0d888
	;; [unrolled: 1-line block ×4, first 2 shown]
	v_add_f64 v[112:113], v[72:73], v[84:85]
	s_mov_b32 s38, 0x910ea3b9
	s_mov_b32 s39, 0xbfeb34fa
	v_add_f64 v[128:129], v[72:73], -v[84:85]
	v_add_f64 v[140:141], v[74:75], v[86:87]
	v_add_f64 v[134:135], v[78:79], -v[82:83]
	v_mul_f64 v[241:242], v[120:121], s[34:35]
	s_mov_b32 s36, 0xacd6c6b4
	s_mov_b32 s37, 0xbfc7851a
	v_add_f64 v[114:115], v[76:77], v[80:81]
	s_mov_b32 s28, 0x7faef3
	s_mov_b32 s29, 0xbfef7484
	v_fma_f64 v[8:9], v[92:93], s[18:19], v[12:13]
	v_add_f64 v[122:123], v[76:77], -v[80:81]
	v_add_f64 v[138:139], v[78:79], v[82:83]
	v_mul_f64 v[190:191], v[146:147], s[8:9]
	v_mul_f64 v[192:193], v[158:159], s[8:9]
	;; [unrolled: 1-line block ×6, first 2 shown]
	s_mov_b32 s43, 0x3feec746
	s_mov_b32 s42, s26
	;; [unrolled: 1-line block ×3, first 2 shown]
	v_mul_f64 v[213:214], v[120:121], s[42:43]
	v_mul_f64 v[227:228], v[130:131], s[42:43]
	s_mov_b32 s44, s6
	s_mov_b32 s51, 0x3fd71e95
	v_mul_f64 v[215:216], v[132:133], s[44:45]
	v_mul_f64 v[229:230], v[128:129], s[44:45]
	s_mov_b32 s50, s4
	v_mul_f64 v[194:195], v[146:147], s[6:7]
	v_mul_f64 v[217:218], v[134:135], s[50:51]
	;; [unrolled: 1-line block ×6, first 2 shown]
	s_mov_b32 s47, 0x3fc7851a
	s_mov_b32 s46, s36
	v_mul_f64 v[233:234], v[106:107], s[42:43]
	v_mul_f64 v[223:224], v[100:101], s[46:47]
	;; [unrolled: 1-line block ×4, first 2 shown]
	s_mov_b32 s49, 0x3fe58eea
	s_mov_b32 s48, s8
	v_mul_f64 v[247:248], v[120:121], s[4:5]
	v_mul_f64 v[245:246], v[126:127], s[48:49]
	;; [unrolled: 1-line block ×19, first 2 shown]
	s_mov_b32 s57, 0x3fe9895b
	s_mov_b32 s56, s34
	v_mul_f64 v[160:161], v[134:135], s[48:49]
	v_mul_f64 v[166:167], v[132:133], s[56:57]
	;; [unrolled: 1-line block ×10, first 2 shown]
	s_mov_b32 s55, 0x3fefdd0d
	s_mov_b32 s54, s20
	v_mul_f64 v[188:189], v[130:131], s[54:55]
	v_fma_f64 v[0:1], v[144:145], s[16:17], v[0:1]
	v_fma_f64 v[2:3], v[156:157], s[16:17], -v[2:3]
	v_add_f64 v[0:1], v[20:21], v[0:1]
	v_add_f64 v[2:3], v[22:23], v[2:3]
	;; [unrolled: 1-line block ×4, first 2 shown]
	v_fma_f64 v[4:5], v[110:111], s[18:19], -v[18:19]
	v_fma_f64 v[6:7], v[98:99], s[22:23], v[16:17]
	v_add_f64 v[0:1], v[8:9], v[0:1]
	v_add_f64 v[2:3], v[4:5], v[2:3]
	v_fma_f64 v[4:5], v[124:125], s[22:23], -v[108:109]
	v_add_f64 v[108:109], v[60:61], v[48:49]
	v_add_f64 v[0:1], v[6:7], v[0:1]
	;; [unrolled: 1-line block ×3, first 2 shown]
	v_mul_f64 v[4:5], v[126:127], s[26:27]
	buffer_store_dword v4, off, s[60:63], 0 offset:144 ; 4-byte Folded Spill
	buffer_store_dword v5, off, s[60:63], 0 offset:148 ; 4-byte Folded Spill
	v_fma_f64 v[4:5], v[108:109], s[24:25], v[4:5]
	v_add_f64 v[0:1], v[4:5], v[0:1]
	v_mul_f64 v[4:5], v[118:119], s[26:27]
	buffer_store_dword v4, off, s[60:63], 0 offset:200 ; 4-byte Folded Spill
	buffer_store_dword v5, off, s[60:63], 0 offset:204 ; 4-byte Folded Spill
	v_fma_f64 v[4:5], v[142:143], s[24:25], -v[4:5]
	v_add_f64 v[2:3], v[4:5], v[2:3]
	v_fma_f64 v[4:5], v[116:117], s[30:31], v[241:242]
	v_add_f64 v[0:1], v[4:5], v[0:1]
	v_mul_f64 v[4:5], v[130:131], s[34:35]
	buffer_store_dword v4, off, s[60:63], 0 offset:216 ; 4-byte Folded Spill
	buffer_store_dword v5, off, s[60:63], 0 offset:220 ; 4-byte Folded Spill
	v_fma_f64 v[4:5], v[136:137], s[30:31], -v[4:5]
	v_add_f64 v[2:3], v[4:5], v[2:3]
	v_mul_f64 v[4:5], v[132:133], s[52:53]
	buffer_store_dword v4, off, s[60:63], 0 offset:208 ; 4-byte Folded Spill
	buffer_store_dword v5, off, s[60:63], 0 offset:212 ; 4-byte Folded Spill
	v_fma_f64 v[4:5], v[112:113], s[38:39], v[4:5]
	v_add_f64 v[0:1], v[4:5], v[0:1]
	v_mul_f64 v[4:5], v[128:129], s[52:53]
	buffer_store_dword v4, off, s[60:63], 0 offset:232 ; 4-byte Folded Spill
	buffer_store_dword v5, off, s[60:63], 0 offset:236 ; 4-byte Folded Spill
	v_fma_f64 v[4:5], v[140:141], s[38:39], -v[4:5]
	v_add_f64 v[2:3], v[4:5], v[2:3]
	v_mul_f64 v[4:5], v[134:135], s[36:37]
	buffer_store_dword v4, off, s[60:63], 0 offset:224 ; 4-byte Folded Spill
	buffer_store_dword v5, off, s[60:63], 0 offset:228 ; 4-byte Folded Spill
	v_fma_f64 v[4:5], v[114:115], s[28:29], v[4:5]
	v_add_f64 v[4:5], v[4:5], v[0:1]
	v_mul_f64 v[0:1], v[122:123], s[36:37]
	buffer_store_dword v0, off, s[60:63], 0 offset:264 ; 4-byte Folded Spill
	buffer_store_dword v1, off, s[60:63], 0 offset:268 ; 4-byte Folded Spill
	v_fma_f64 v[0:1], v[138:139], s[28:29], -v[0:1]
	v_add_f64 v[6:7], v[0:1], v[2:3]
	v_mul_f64 v[2:3], v[96:97], s[20:21]
	v_fma_f64 v[0:1], v[144:145], s[10:11], v[190:191]
	buffer_store_dword v4, off, s[60:63], 0 offset:8 ; 4-byte Folded Spill
	buffer_store_dword v5, off, s[60:63], 0 offset:12 ; 4-byte Folded Spill
	;; [unrolled: 1-line block ×6, first 2 shown]
	v_mul_f64 v[4:5], v[90:91], s[20:21]
	v_add_f64 v[0:1], v[20:21], v[0:1]
	buffer_store_dword v4, off, s[60:63], 0 offset:280 ; 4-byte Folded Spill
	buffer_store_dword v5, off, s[60:63], 0 offset:284 ; 4-byte Folded Spill
	v_fma_f64 v[2:3], v[88:89], s[22:23], v[2:3]
	v_add_f64 v[0:1], v[2:3], v[0:1]
	v_fma_f64 v[2:3], v[156:157], s[10:11], -v[192:193]
	v_fma_f64 v[4:5], v[102:103], s[22:23], -v[4:5]
	v_add_f64 v[2:3], v[22:23], v[2:3]
	v_add_f64 v[2:3], v[4:5], v[2:3]
	v_mul_f64 v[4:5], v[100:101], s[34:35]
	buffer_store_dword v4, off, s[60:63], 0 offset:272 ; 4-byte Folded Spill
	buffer_store_dword v5, off, s[60:63], 0 offset:276 ; 4-byte Folded Spill
	v_fma_f64 v[4:5], v[92:93], s[30:31], v[4:5]
	v_add_f64 v[0:1], v[4:5], v[0:1]
	v_fma_f64 v[4:5], v[110:111], s[30:31], -v[207:208]
	v_add_f64 v[2:3], v[4:5], v[2:3]
	v_mul_f64 v[4:5], v[106:107], s[36:37]
	buffer_store_dword v4, off, s[60:63], 0 offset:288 ; 4-byte Folded Spill
	buffer_store_dword v5, off, s[60:63], 0 offset:292 ; 4-byte Folded Spill
	v_fma_f64 v[4:5], v[98:99], s[28:29], v[4:5]
	v_add_f64 v[0:1], v[4:5], v[0:1]
	v_fma_f64 v[4:5], v[124:125], s[28:29], -v[219:220]
	v_add_f64 v[2:3], v[4:5], v[2:3]
	v_fma_f64 v[4:5], v[108:109], s[38:39], v[209:210]
	v_add_f64 v[0:1], v[4:5], v[0:1]
	v_fma_f64 v[4:5], v[142:143], s[38:39], -v[221:222]
	v_add_f64 v[2:3], v[4:5], v[2:3]
	;; [unrolled: 4-line block ×5, first 2 shown]
	v_fma_f64 v[0:1], v[144:145], s[18:19], v[194:195]
	v_fma_f64 v[2:3], v[88:89], s[30:31], v[211:212]
	buffer_store_dword v4, off, s[60:63], 0 offset:24 ; 4-byte Folded Spill
	buffer_store_dword v5, off, s[60:63], 0 offset:28 ; 4-byte Folded Spill
	;; [unrolled: 1-line block ×4, first 2 shown]
	v_add_f64 v[0:1], v[20:21], v[0:1]
	v_fma_f64 v[4:5], v[102:103], s[30:31], -v[235:236]
	v_add_f64 v[0:1], v[2:3], v[0:1]
	v_fma_f64 v[2:3], v[156:157], s[18:19], -v[196:197]
	v_add_f64 v[2:3], v[22:23], v[2:3]
	v_add_f64 v[2:3], v[4:5], v[2:3]
	v_fma_f64 v[4:5], v[92:93], s[28:29], v[223:224]
	v_add_f64 v[0:1], v[4:5], v[0:1]
	v_fma_f64 v[4:5], v[110:111], s[28:29], -v[249:250]
	v_add_f64 v[2:3], v[4:5], v[2:3]
	v_fma_f64 v[4:5], v[98:99], s[24:25], v[233:234]
	v_add_f64 v[0:1], v[4:5], v[0:1]
	v_fma_f64 v[4:5], v[124:125], s[24:25], -v[251:252]
	;; [unrolled: 4-line block ×6, first 2 shown]
	v_add_f64 v[6:7], v[0:1], v[2:3]
	v_mul_f64 v[2:3], v[96:97], s[36:37]
	buffer_store_dword v4, off, s[60:63], 0 offset:40 ; 4-byte Folded Spill
	buffer_store_dword v5, off, s[60:63], 0 offset:44 ; 4-byte Folded Spill
	;; [unrolled: 1-line block ×6, first 2 shown]
	v_fma_f64 v[0:1], v[144:145], s[22:23], v[198:199]
	v_fma_f64 v[4:5], v[102:103], s[28:29], -v[150:151]
	v_add_f64 v[0:1], v[20:21], v[0:1]
	v_fma_f64 v[2:3], v[88:89], s[28:29], v[2:3]
	v_add_f64 v[0:1], v[2:3], v[0:1]
	v_fma_f64 v[2:3], v[156:157], s[22:23], -v[200:201]
	v_add_f64 v[2:3], v[22:23], v[2:3]
	v_add_f64 v[2:3], v[4:5], v[2:3]
	v_fma_f64 v[4:5], v[92:93], s[24:25], v[243:244]
	v_add_f64 v[0:1], v[4:5], v[0:1]
	v_fma_f64 v[4:5], v[110:111], s[24:25], -v[168:169]
	v_add_f64 v[2:3], v[4:5], v[2:3]
	v_fma_f64 v[4:5], v[98:99], s[16:17], v[253:254]
	v_add_f64 v[0:1], v[4:5], v[0:1]
	v_fma_f64 v[4:5], v[124:125], s[16:17], -v[174:175]
	;; [unrolled: 4-line block ×6, first 2 shown]
	v_add_f64 v[6:7], v[0:1], v[2:3]
	v_fma_f64 v[0:1], v[144:145], s[24:25], v[202:203]
	v_fma_f64 v[2:3], v[88:89], s[38:39], v[237:238]
	buffer_store_dword v4, off, s[60:63], 0 offset:56 ; 4-byte Folded Spill
	buffer_store_dword v5, off, s[60:63], 0 offset:60 ; 4-byte Folded Spill
	;; [unrolled: 1-line block ×4, first 2 shown]
	v_add_f64 v[0:1], v[20:21], v[0:1]
	v_fma_f64 v[4:5], v[102:103], s[38:39], -v[176:177]
	v_add_f64 v[0:1], v[2:3], v[0:1]
	v_fma_f64 v[2:3], v[156:157], s[24:25], -v[204:205]
	v_add_f64 v[2:3], v[22:23], v[2:3]
	v_add_f64 v[2:3], v[4:5], v[2:3]
	v_fma_f64 v[4:5], v[92:93], s[10:11], v[148:149]
	v_add_f64 v[4:5], v[4:5], v[0:1]
	v_mul_f64 v[0:1], v[94:95], s[48:49]
	v_fma_f64 v[6:7], v[110:111], s[10:11], -v[0:1]
	v_add_f64 v[6:7], v[6:7], v[2:3]
	v_mul_f64 v[2:3], v[106:107], s[6:7]
	buffer_store_dword v2, off, s[60:63], 0 offset:152 ; 4-byte Folded Spill
	buffer_store_dword v3, off, s[60:63], 0 offset:156 ; 4-byte Folded Spill
	v_fma_f64 v[2:3], v[98:99], s[18:19], v[2:3]
	v_add_f64 v[4:5], v[2:3], v[4:5]
	v_mul_f64 v[2:3], v[104:105], s[6:7]
	v_fma_f64 v[8:9], v[124:125], s[18:19], -v[2:3]
	v_add_f64 v[6:7], v[8:9], v[6:7]
	v_mul_f64 v[8:9], v[126:127], s[36:37]
	buffer_store_dword v8, off, s[60:63], 0 offset:160 ; 4-byte Folded Spill
	buffer_store_dword v9, off, s[60:63], 0 offset:164 ; 4-byte Folded Spill
	v_fma_f64 v[8:9], v[108:109], s[28:29], v[8:9]
	v_add_f64 v[4:5], v[8:9], v[4:5]
	v_fma_f64 v[8:9], v[142:143], s[28:29], -v[184:185]
	v_add_f64 v[6:7], v[8:9], v[6:7]
	v_mul_f64 v[8:9], v[120:121], s[54:55]
	buffer_store_dword v8, off, s[60:63], 0 offset:168 ; 4-byte Folded Spill
	buffer_store_dword v9, off, s[60:63], 0 offset:172 ; 4-byte Folded Spill
	v_fma_f64 v[8:9], v[116:117], s[22:23], v[8:9]
	v_add_f64 v[4:5], v[8:9], v[4:5]
	;; [unrolled: 7-line block ×3, first 2 shown]
	v_mul_f64 v[8:9], v[128:129], s[4:5]
	buffer_store_dword v8, off, s[60:63], 0 offset:192 ; 4-byte Folded Spill
	buffer_store_dword v9, off, s[60:63], 0 offset:196 ; 4-byte Folded Spill
	v_fma_f64 v[8:9], v[140:141], s[16:17], -v[8:9]
	v_add_f64 v[6:7], v[8:9], v[6:7]
	v_mul_f64 v[8:9], v[134:135], s[34:35]
	buffer_store_dword v8, off, s[60:63], 0 offset:184 ; 4-byte Folded Spill
	buffer_store_dword v9, off, s[60:63], 0 offset:188 ; 4-byte Folded Spill
	s_waitcnt_vscnt null, 0x0
	s_barrier
	buffer_gl0_inv
	v_fma_f64 v[8:9], v[114:115], s[30:31], v[8:9]
	v_add_f64 v[16:17], v[8:9], v[4:5]
	v_mul_f64 v[8:9], v[122:123], s[34:35]
	v_fma_f64 v[4:5], v[138:139], s[30:31], -v[8:9]
	v_add_f64 v[18:19], v[4:5], v[6:7]
	s_and_saveexec_b32 s33, vcc_lo
	s_cbranch_execz .LBB0_7
; %bb.6:
	v_add_f64 v[4:5], v[22:23], v[42:43]
	v_add_f64 v[6:7], v[20:21], v[40:41]
	;; [unrolled: 1-line block ×8, first 2 shown]
	v_mul_f64 v[58:59], v[144:145], s[16:17]
	v_add_f64 v[4:5], v[4:5], v[62:63]
	v_add_f64 v[6:7], v[6:7], v[60:61]
	;; [unrolled: 1-line block ×4, first 2 shown]
	v_mov_b32_e32 v69, v15
	v_mov_b32_e32 v68, v14
	v_add_f64 v[4:5], v[4:5], v[74:75]
	v_add_f64 v[6:7], v[6:7], v[72:73]
	;; [unrolled: 1-line block ×4, first 2 shown]
	v_mov_b32_e32 v76, v241
	v_mov_b32_e32 v77, v242
	;; [unrolled: 1-line block ×4, first 2 shown]
	v_mul_f64 v[8:9], v[156:157], s[38:39]
	v_add_f64 v[4:5], v[4:5], v[82:83]
	v_add_f64 v[6:7], v[6:7], v[80:81]
	;; [unrolled: 1-line block ×6, first 2 shown]
	v_mov_b32_e32 v67, v13
	v_mov_b32_e32 v66, v12
	v_mul_f64 v[12:13], v[156:157], s[30:31]
	v_mov_b32_e32 v65, v11
	v_mov_b32_e32 v64, v10
	v_fma_f64 v[10:11], v[158:159], s[40:41], v[8:9]
	v_fma_f64 v[8:9], v[158:159], s[52:53], v[8:9]
	v_add_f64 v[4:5], v[4:5], v[50:51]
	v_add_f64 v[6:7], v[6:7], v[48:49]
	v_mul_f64 v[50:51], v[146:147], s[34:35]
	v_fma_f64 v[14:15], v[158:159], s[56:57], v[12:13]
	v_fma_f64 v[12:13], v[158:159], s[34:35], v[12:13]
	v_add_f64 v[10:11], v[22:23], v[10:11]
	v_add_f64 v[8:9], v[22:23], v[8:9]
	;; [unrolled: 1-line block ×4, first 2 shown]
	v_fma_f64 v[56:57], v[144:145], s[30:31], v[50:51]
	v_fma_f64 v[50:51], v[144:145], s[30:31], -v[50:51]
	v_add_f64 v[12:13], v[22:23], v[12:13]
	v_add_f64 v[4:5], v[4:5], v[34:35]
	;; [unrolled: 1-line block ×4, first 2 shown]
	s_clause 0x3
	buffer_load_dword v30, off, s[60:63], 0 offset:88
	buffer_load_dword v31, off, s[60:63], 0 offset:92
	;; [unrolled: 1-line block ×4, first 2 shown]
	v_add_f64 v[6:7], v[6:7], v[28:29]
	v_mul_f64 v[28:29], v[156:157], s[24:25]
	v_add_f64 v[26:27], v[4:5], v[26:27]
	v_mul_f64 v[4:5], v[156:157], s[28:29]
	v_add_f64 v[24:25], v[6:7], v[24:25]
	v_add_f64 v[32:33], v[204:205], v[28:29]
	v_mul_f64 v[28:29], v[144:145], s[24:25]
	v_mul_f64 v[204:205], v[114:115], s[16:17]
	v_fma_f64 v[6:7], v[158:159], s[46:47], v[4:5]
	v_fma_f64 v[4:5], v[158:159], s[36:37], v[4:5]
	v_mul_f64 v[158:159], v[98:99], s[28:29]
	v_add_f64 v[32:33], v[22:23], v[32:33]
	v_add_f64 v[34:35], v[28:29], -v[202:203]
	v_mul_f64 v[28:29], v[156:157], s[22:23]
	v_add_f64 v[204:205], v[204:205], -v[217:218]
	v_mul_f64 v[217:218], v[98:99], s[24:25]
	v_mul_f64 v[202:203], v[138:139], s[16:17]
	v_add_f64 v[6:7], v[22:23], v[6:7]
	v_add_f64 v[4:5], v[22:23], v[4:5]
	;; [unrolled: 1-line block ×4, first 2 shown]
	v_mul_f64 v[28:29], v[144:145], s[22:23]
	v_add_f64 v[217:218], v[217:218], -v[233:234]
	v_mul_f64 v[233:234], v[136:137], s[38:39]
	v_mul_f64 v[200:201], v[112:113], s[18:19]
	v_add_f64 v[202:203], v[231:232], v[202:203]
	v_mul_f64 v[231:232], v[108:109], s[18:19]
	v_add_f64 v[36:37], v[22:23], v[36:37]
	v_add_f64 v[38:39], v[28:29], -v[198:199]
	v_mul_f64 v[28:29], v[156:157], s[18:19]
	v_add_f64 v[180:181], v[180:181], v[233:234]
	v_mul_f64 v[233:234], v[116:117], s[38:39]
	v_add_f64 v[200:201], v[200:201], -v[215:216]
	v_mul_f64 v[215:216], v[92:93], s[28:29]
	v_mul_f64 v[198:199], v[140:141], s[18:19]
	v_add_f64 v[170:171], v[231:232], -v[170:171]
	v_mul_f64 v[231:232], v[98:99], s[16:17]
	v_add_f64 v[38:39], v[20:21], v[38:39]
	v_add_f64 v[40:41], v[196:197], v[28:29]
	v_mul_f64 v[28:29], v[144:145], s[18:19]
	v_add_f64 v[164:165], v[233:234], -v[164:165]
	v_mul_f64 v[233:234], v[140:141], s[30:31]
	v_add_f64 v[215:216], v[215:216], -v[223:224]
	v_mul_f64 v[223:224], v[140:141], s[22:23]
	v_add_f64 v[198:199], v[229:230], v[198:199]
	v_mul_f64 v[229:230], v[142:143], s[18:19]
	v_add_f64 v[231:232], v[231:232], -v[253:254]
	v_mul_f64 v[196:197], v[116:117], s[24:25]
	v_add_f64 v[40:41], v[22:23], v[40:41]
	v_add_f64 v[42:43], v[28:29], -v[194:195]
	v_mul_f64 v[28:29], v[156:157], s[10:11]
	v_add_f64 v[182:183], v[182:183], v[233:234]
	v_mul_f64 v[233:234], v[112:113], s[30:31]
	v_mul_f64 v[194:195], v[136:137], s[24:25]
	v_add_f64 v[154:155], v[154:155], v[223:224]
	v_mul_f64 v[223:224], v[112:113], s[22:23]
	v_add_f64 v[186:187], v[186:187], v[229:230]
	v_mul_f64 v[229:230], v[102:103], s[28:29]
	v_add_f64 v[196:197], v[196:197], -v[213:214]
	v_mul_f64 v[213:214], v[88:89], s[30:31]
	v_add_f64 v[42:43], v[20:21], v[42:43]
	v_add_f64 v[44:45], v[192:193], v[28:29]
	v_mul_f64 v[28:29], v[144:145], s[10:11]
	v_add_f64 v[166:167], v[233:234], -v[166:167]
	v_mul_f64 v[233:234], v[138:139], s[10:11]
	v_mul_f64 v[192:193], v[108:109], s[38:39]
	v_add_f64 v[194:195], v[227:228], v[194:195]
	v_mul_f64 v[227:228], v[138:139], s[38:39]
	v_add_f64 v[223:224], v[223:224], -v[225:226]
	v_add_f64 v[150:151], v[150:151], v[229:230]
	v_mul_f64 v[229:230], v[110:111], s[24:25]
	v_add_f64 v[211:212], v[213:214], -v[211:212]
	v_mul_f64 v[213:214], v[142:143], s[10:11]
	v_add_f64 v[44:45], v[22:23], v[44:45]
	v_add_f64 v[46:47], v[28:29], -v[190:191]
	v_mul_f64 v[28:29], v[156:157], s[16:17]
	v_add_f64 v[178:179], v[178:179], v[233:234]
	v_mul_f64 v[233:234], v[114:115], s[10:11]
	v_add_f64 v[192:193], v[192:193], -v[209:210]
	v_add_f64 v[152:153], v[152:153], v[227:228]
	v_mul_f64 v[227:228], v[114:115], s[38:39]
	v_add_f64 v[36:37], v[150:151], v[36:37]
	v_add_f64 v[168:169], v[168:169], v[229:230]
	v_mul_f64 v[229:230], v[124:125], s[16:17]
	v_mul_f64 v[209:210], v[110:111], s[28:29]
	v_add_f64 v[172:173], v[172:173], v[213:214]
	v_mul_f64 v[213:214], v[124:125], s[24:25]
	v_add_f64 v[42:43], v[211:212], v[42:43]
	v_add_f64 v[46:47], v[20:21], v[46:47]
	v_add_f64 v[160:161], v[233:234], -v[160:161]
	v_mul_f64 v[233:234], v[136:137], s[22:23]
	v_add_f64 v[227:228], v[227:228], -v[239:240]
	v_add_f64 v[36:37], v[168:169], v[36:37]
	v_add_f64 v[174:175], v[174:175], v[229:230]
	v_mul_f64 v[229:230], v[88:89], s[28:29]
	v_add_f64 v[209:210], v[249:250], v[209:210]
	v_add_f64 v[213:214], v[251:252], v[213:214]
	;; [unrolled: 1-line block ×4, first 2 shown]
	v_mul_f64 v[233:234], v[102:103], s[38:39]
	v_add_f64 v[36:37], v[174:175], v[36:37]
	v_add_f64 v[42:43], v[217:218], v[42:43]
	v_add_f64 v[176:177], v[176:177], v[233:234]
	v_mul_f64 v[233:234], v[110:111], s[10:11]
	v_add_f64 v[36:37], v[186:187], v[36:37]
	v_add_f64 v[32:33], v[176:177], v[32:33]
	v_add_f64 v[0:1], v[0:1], v[233:234]
	;; [unrolled: 4-line block ×3, first 2 shown]
	v_mul_f64 v[233:234], v[142:143], s[28:29]
	v_mul_f64 v[32:33], v[124:125], s[10:11]
	s_waitcnt vmcnt(2)
	v_add_f64 v[48:49], v[30:31], v[28:29]
	v_mul_f64 v[28:29], v[146:147], s[36:37]
	v_mul_f64 v[30:31], v[146:147], s[52:53]
	s_waitcnt vmcnt(0)
	v_add_f64 v[58:59], v[58:59], -v[60:61]
	v_mul_f64 v[146:147], v[92:93], s[30:31]
	v_add_f64 v[0:1], v[2:3], v[0:1]
	v_add_f64 v[184:185], v[184:185], v[233:234]
	v_mul_f64 v[233:234], v[88:89], s[38:39]
	v_mul_f64 v[2:3], v[142:143], s[30:31]
	v_fma_f64 v[52:53], v[144:145], s[28:29], v[28:29]
	v_fma_f64 v[28:29], v[144:145], s[28:29], -v[28:29]
	v_fma_f64 v[54:55], v[144:145], s[38:39], v[30:31]
	v_fma_f64 v[30:31], v[144:145], s[38:39], -v[30:31]
	v_add_f64 v[0:1], v[184:185], v[0:1]
	v_add_f64 v[233:234], v[233:234], -v[237:238]
	v_add_f64 v[52:53], v[20:21], v[52:53]
	v_add_f64 v[60:61], v[20:21], v[28:29]
	;; [unrolled: 1-line block ×8, first 2 shown]
	s_clause 0x1
	buffer_load_dword v58, off, s[60:63], 0 offset:120
	buffer_load_dword v59, off, s[60:63], 0 offset:124
	v_mul_f64 v[56:57], v[110:111], s[18:19]
	v_add_f64 v[22:23], v[22:23], v[48:49]
	v_mul_f64 v[48:49], v[102:103], s[10:11]
	v_mul_f64 v[50:51], v[88:89], s[10:11]
	v_add_f64 v[34:35], v[233:234], v[34:35]
	v_add_f64 v[0:1], v[188:189], v[0:1]
	;; [unrolled: 1-line block ×3, first 2 shown]
	v_add_f64 v[50:51], v[50:51], -v[64:65]
	v_mul_f64 v[64:65], v[124:125], s[22:23]
	v_add_f64 v[22:23], v[48:49], v[22:23]
	v_mul_f64 v[48:49], v[110:111], s[38:39]
	v_add_f64 v[20:21], v[50:51], v[20:21]
	v_fma_f64 v[50:51], v[94:95], s[40:41], v[48:49]
	v_fma_f64 v[48:49], v[94:95], s[52:53], v[48:49]
	s_waitcnt vmcnt(0)
	v_add_f64 v[56:57], v[58:59], v[56:57]
	v_mul_f64 v[58:59], v[92:93], s[18:19]
	v_add_f64 v[22:23], v[56:57], v[22:23]
	v_add_f64 v[58:59], v[58:59], -v[66:67]
	s_clause 0x1b
	buffer_load_dword v66, off, s[60:63], 0 offset:136
	buffer_load_dword v67, off, s[60:63], 0 offset:140
	;; [unrolled: 1-line block ×28, first 2 shown]
	v_add_f64 v[20:21], v[58:59], v[20:21]
	s_waitcnt vmcnt(26)
	v_add_f64 v[64:65], v[66:67], v[64:65]
	v_mul_f64 v[66:67], v[98:99], s[22:23]
	s_waitcnt vmcnt(4)
	v_add_f64 v[146:147], v[146:147], -v[156:157]
	v_mul_f64 v[156:157], v[124:125], s[28:29]
	s_waitcnt vmcnt(2)
	v_add_f64 v[158:159], v[158:159], -v[190:191]
	v_mul_f64 v[190:191], v[142:143], s[38:39]
	s_waitcnt vmcnt(0)
	v_add_f64 v[225:226], v[229:230], -v[225:226]
	v_mul_f64 v[229:230], v[92:93], s[24:25]
	v_add_f64 v[22:23], v[64:65], v[22:23]
	v_add_f64 v[66:67], v[66:67], -v[68:69]
	v_mul_f64 v[68:69], v[142:143], s[24:25]
	v_add_f64 v[156:157], v[219:220], v[156:157]
	v_mul_f64 v[219:220], v[108:109], s[10:11]
	v_add_f64 v[190:191], v[221:222], v[190:191]
	v_add_f64 v[38:39], v[225:226], v[38:39]
	v_add_f64 v[229:230], v[229:230], -v[243:244]
	v_mul_f64 v[221:222], v[136:137], s[16:17]
	v_add_f64 v[20:21], v[66:67], v[20:21]
	v_add_f64 v[68:69], v[70:71], v[68:69]
	v_mul_f64 v[70:71], v[108:109], s[24:25]
	v_add_f64 v[219:220], v[219:220], -v[245:246]
	v_add_f64 v[38:39], v[229:230], v[38:39]
	v_add_f64 v[162:163], v[162:163], v[221:222]
	v_mul_f64 v[221:222], v[116:117], s[16:17]
	v_add_f64 v[22:23], v[68:69], v[22:23]
	v_add_f64 v[70:71], v[70:71], -v[72:73]
	v_mul_f64 v[72:73], v[136:137], s[30:31]
	v_add_f64 v[42:43], v[219:220], v[42:43]
	v_add_f64 v[38:39], v[231:232], v[38:39]
	v_add_f64 v[221:222], v[221:222], -v[247:248]
	v_add_f64 v[20:21], v[70:71], v[20:21]
	v_add_f64 v[72:73], v[74:75], v[72:73]
	v_mul_f64 v[74:75], v[116:117], s[30:31]
	v_add_f64 v[38:39], v[170:171], v[38:39]
	v_add_f64 v[42:43], v[221:222], v[42:43]
	;; [unrolled: 1-line block ×3, first 2 shown]
	v_add_f64 v[74:75], v[74:75], -v[76:77]
	v_mul_f64 v[76:77], v[140:141], s[38:39]
	v_add_f64 v[38:39], v[164:165], v[38:39]
	v_add_f64 v[42:43], v[223:224], v[42:43]
	;; [unrolled: 1-line block ×4, first 2 shown]
	v_mul_f64 v[78:79], v[112:113], s[38:39]
	v_add_f64 v[58:59], v[166:167], v[38:39]
	v_add_f64 v[78:79], v[78:79], -v[80:81]
	v_mul_f64 v[80:81], v[138:139], s[28:29]
	v_add_f64 v[80:81], v[82:83], v[80:81]
	v_mul_f64 v[82:83], v[114:115], s[28:29]
	v_add_f64 v[82:83], v[82:83], -v[84:85]
	v_mul_f64 v[84:85], v[102:103], s[22:23]
	v_add_f64 v[84:85], v[86:87], v[84:85]
	v_mul_f64 v[86:87], v[88:89], s[22:23]
	v_add_f64 v[44:45], v[84:85], v[44:45]
	v_add_f64 v[86:87], v[86:87], -v[144:145]
	v_mul_f64 v[144:145], v[110:111], s[30:31]
	v_add_f64 v[46:47], v[86:87], v[46:47]
	v_add_f64 v[144:145], v[207:208], v[144:145]
	v_mul_f64 v[207:208], v[102:103], s[30:31]
	v_add_f64 v[46:47], v[146:147], v[46:47]
	v_add_f64 v[44:45], v[144:145], v[44:45]
	;; [unrolled: 1-line block ×3, first 2 shown]
	v_mul_f64 v[235:236], v[92:93], s[10:11]
	v_add_f64 v[46:47], v[158:159], v[46:47]
	v_add_f64 v[44:45], v[156:157], v[44:45]
	;; [unrolled: 1-line block ×3, first 2 shown]
	v_add_f64 v[148:149], v[235:236], -v[148:149]
	v_mul_f64 v[235:236], v[102:103], s[16:17]
	v_add_f64 v[40:41], v[209:210], v[40:41]
	v_fma_f64 v[237:238], v[90:91], s[4:5], v[235:236]
	v_fma_f64 v[235:236], v[90:91], s[50:51], v[235:236]
	v_add_f64 v[40:41], v[213:214], v[40:41]
	v_add_f64 v[6:7], v[237:238], v[6:7]
	v_mul_f64 v[237:238], v[96:97], s[50:51]
	v_add_f64 v[4:5], v[235:236], v[4:5]
	v_add_f64 v[40:41], v[172:173], v[40:41]
	;; [unrolled: 1-line block ×3, first 2 shown]
	v_mul_f64 v[50:51], v[100:101], s[52:53]
	v_fma_f64 v[235:236], v[88:89], s[16:17], -v[237:238]
	v_add_f64 v[4:5], v[48:49], v[4:5]
	v_fma_f64 v[239:240], v[88:89], s[16:17], v[237:238]
	v_add_f64 v[40:41], v[162:163], v[40:41]
	v_fma_f64 v[84:85], v[92:93], s[38:39], v[50:51]
	v_fma_f64 v[48:49], v[92:93], s[38:39], -v[50:51]
	v_fma_f64 v[50:51], v[104:105], s[8:9], v[32:33]
	v_add_f64 v[60:61], v[235:236], v[60:61]
	v_fma_f64 v[32:33], v[104:105], s[48:49], v[32:33]
	v_add_f64 v[52:53], v[239:240], v[52:53]
	v_add_f64 v[40:41], v[154:155], v[40:41]
	;; [unrolled: 1-line block ×3, first 2 shown]
	v_mul_f64 v[50:51], v[106:107], s[48:49]
	v_add_f64 v[48:49], v[48:49], v[60:61]
	v_add_f64 v[4:5], v[32:33], v[4:5]
	;; [unrolled: 1-line block ×3, first 2 shown]
	v_fma_f64 v[32:33], v[98:99], s[10:11], -v[50:51]
	v_fma_f64 v[56:57], v[98:99], s[10:11], v[50:51]
	v_add_f64 v[32:33], v[32:33], v[48:49]
	v_fma_f64 v[48:49], v[118:119], s[56:57], v[2:3]
	v_fma_f64 v[2:3], v[118:119], s[34:35], v[2:3]
	v_add_f64 v[52:53], v[56:57], v[52:53]
	v_add_f64 v[56:57], v[182:183], v[36:37]
	;; [unrolled: 1-line block ×3, first 2 shown]
	v_mul_f64 v[48:49], v[126:127], s[34:35]
	v_add_f64 v[2:3], v[2:3], v[4:5]
	v_fma_f64 v[4:5], v[108:109], s[30:31], -v[48:49]
	v_fma_f64 v[50:51], v[108:109], s[30:31], v[48:49]
	v_add_f64 v[4:5], v[4:5], v[32:33]
	v_add_f64 v[32:33], v[190:191], v[44:45]
	;; [unrolled: 1-line block ×3, first 2 shown]
	v_mul_f64 v[46:47], v[136:137], s[18:19]
	v_add_f64 v[50:51], v[50:51], v[52:53]
	v_add_f64 v[32:33], v[194:195], v[32:33]
	;; [unrolled: 1-line block ×3, first 2 shown]
	v_fma_f64 v[48:49], v[130:131], s[6:7], v[46:47]
	v_fma_f64 v[46:47], v[130:131], s[44:45], v[46:47]
	v_add_f64 v[32:33], v[198:199], v[32:33]
	v_add_f64 v[44:45], v[200:201], v[44:45]
	;; [unrolled: 1-line block ×3, first 2 shown]
	v_mul_f64 v[48:49], v[120:121], s[44:45]
	v_add_f64 v[2:3], v[46:47], v[2:3]
	v_fma_f64 v[46:47], v[116:117], s[18:19], -v[48:49]
	v_fma_f64 v[52:53], v[116:117], s[18:19], v[48:49]
	v_add_f64 v[4:5], v[46:47], v[4:5]
	v_mul_f64 v[46:47], v[140:141], s[24:25]
	v_add_f64 v[50:51], v[52:53], v[50:51]
	v_fma_f64 v[48:49], v[128:129], s[42:43], v[46:47]
	v_fma_f64 v[46:47], v[128:129], s[26:27], v[46:47]
	v_add_f64 v[6:7], v[48:49], v[6:7]
	v_mul_f64 v[48:49], v[132:133], s[26:27]
	v_add_f64 v[46:47], v[46:47], v[2:3]
	v_fma_f64 v[52:53], v[112:113], s[24:25], v[48:49]
	v_fma_f64 v[2:3], v[112:113], s[24:25], -v[48:49]
	v_add_f64 v[48:49], v[76:77], v[22:23]
	v_mul_f64 v[22:23], v[108:109], s[28:29]
	v_add_f64 v[50:51], v[52:53], v[50:51]
	v_add_f64 v[52:53], v[78:79], v[20:21]
	s_clause 0x1
	buffer_load_dword v20, off, s[60:63], 0 offset:152
	buffer_load_dword v21, off, s[60:63], 0 offset:156
	v_add_f64 v[4:5], v[2:3], v[4:5]
	v_mul_f64 v[2:3], v[98:99], s[18:19]
	s_waitcnt vmcnt(0)
	v_add_f64 v[2:3], v[2:3], -v[20:21]
	v_add_f64 v[20:21], v[148:149], v[34:35]
	s_clause 0x1
	buffer_load_dword v34, off, s[60:63], 0 offset:160
	buffer_load_dword v35, off, s[60:63], 0 offset:164
	v_add_f64 v[2:3], v[2:3], v[20:21]
	v_mul_f64 v[20:21], v[116:117], s[22:23]
	s_waitcnt vmcnt(0)
	v_add_f64 v[22:23], v[22:23], -v[34:35]
	s_clause 0x1
	buffer_load_dword v34, off, s[60:63], 0 offset:168
	buffer_load_dword v35, off, s[60:63], 0 offset:172
	v_add_f64 v[2:3], v[22:23], v[2:3]
	v_mul_f64 v[22:23], v[140:141], s[16:17]
	s_waitcnt vmcnt(0)
	v_add_f64 v[20:21], v[20:21], -v[34:35]
	s_clause 0x3
	buffer_load_dword v34, off, s[60:63], 0 offset:192
	buffer_load_dword v35, off, s[60:63], 0 offset:196
	;; [unrolled: 1-line block ×4, first 2 shown]
	v_add_f64 v[2:3], v[20:21], v[2:3]
	v_mul_f64 v[20:21], v[138:139], s[30:31]
	v_add_f64 v[60:61], v[241:242], v[20:21]
	s_clause 0x1
	buffer_load_dword v20, off, s[60:63], 0 offset:184
	buffer_load_dword v21, off, s[60:63], 0 offset:188
	s_waitcnt vmcnt(4)
	v_add_f64 v[22:23], v[34:35], v[22:23]
	v_mul_f64 v[34:35], v[112:113], s[16:17]
	v_add_f64 v[64:65], v[22:23], v[0:1]
	v_mul_f64 v[0:1], v[114:115], s[30:31]
	s_waitcnt vmcnt(2)
	v_add_f64 v[34:35], v[34:35], -v[36:37]
	s_waitcnt vmcnt(0)
	v_add_f64 v[66:67], v[0:1], -v[20:21]
	v_mul_f64 v[0:1], v[102:103], s[24:25]
	v_add_f64 v[68:69], v[34:35], v[2:3]
	v_fma_f64 v[2:3], v[90:91], s[42:43], v[0:1]
	v_fma_f64 v[0:1], v[90:91], s[26:27], v[0:1]
	v_add_f64 v[2:3], v[2:3], v[12:13]
	v_mul_f64 v[12:13], v[110:111], s[16:17]
	v_add_f64 v[0:1], v[0:1], v[28:29]
	v_fma_f64 v[20:21], v[94:95], s[4:5], v[12:13]
	v_fma_f64 v[12:13], v[94:95], s[50:51], v[12:13]
	v_add_f64 v[2:3], v[20:21], v[2:3]
	;; [unrolled: 5-line block ×5, first 2 shown]
	v_mul_f64 v[36:37], v[96:97], s[42:43]
	v_add_f64 v[0:1], v[34:35], v[0:1]
	v_fma_f64 v[38:39], v[88:89], s[24:25], -v[36:37]
	v_fma_f64 v[36:37], v[88:89], s[24:25], v[36:37]
	v_add_f64 v[14:15], v[38:39], v[14:15]
	v_mul_f64 v[38:39], v[100:101], s[4:5]
	v_add_f64 v[28:29], v[36:37], v[30:31]
	v_fma_f64 v[70:71], v[92:93], s[16:17], -v[38:39]
	v_fma_f64 v[30:31], v[92:93], s[16:17], v[38:39]
	v_mul_f64 v[38:39], v[136:137], s[28:29]
	v_add_f64 v[14:15], v[70:71], v[14:15]
	v_mul_f64 v[70:71], v[106:107], s[52:53]
	v_add_f64 v[12:13], v[30:31], v[28:29]
	v_fma_f64 v[22:23], v[130:131], s[36:37], v[38:39]
	v_fma_f64 v[38:39], v[130:131], s[46:47], v[38:39]
	v_fma_f64 v[72:73], v[98:99], s[38:39], -v[70:71]
	v_fma_f64 v[28:29], v[98:99], s[38:39], v[70:71]
	v_mul_f64 v[70:71], v[140:141], s[28:29]
	v_add_f64 v[14:15], v[72:73], v[14:15]
	v_mul_f64 v[72:73], v[126:127], s[54:55]
	v_add_f64 v[12:13], v[28:29], v[12:13]
	v_fma_f64 v[74:75], v[108:109], s[22:23], -v[72:73]
	v_fma_f64 v[28:29], v[108:109], s[22:23], v[72:73]
	v_mul_f64 v[72:73], v[132:133], s[36:37]
	v_add_f64 v[14:15], v[74:75], v[14:15]
	v_mul_f64 v[74:75], v[102:103], s[18:19]
	v_add_f64 v[12:13], v[28:29], v[12:13]
	v_fma_f64 v[76:77], v[90:91], s[44:45], v[74:75]
	v_fma_f64 v[74:75], v[90:91], s[6:7], v[74:75]
	v_add_f64 v[8:9], v[76:77], v[8:9]
	v_mul_f64 v[76:77], v[96:97], s[44:45]
	v_add_f64 v[10:11], v[74:75], v[10:11]
	v_fma_f64 v[78:79], v[88:89], s[18:19], -v[76:77]
	v_fma_f64 v[74:75], v[88:89], s[18:19], v[76:77]
	v_mul_f64 v[76:77], v[132:133], s[48:49]
	v_add_f64 v[62:63], v[78:79], v[62:63]
	v_mul_f64 v[78:79], v[110:111], s[22:23]
	v_add_f64 v[54:55], v[74:75], v[54:55]
	v_fma_f64 v[84:85], v[94:95], s[20:21], v[78:79]
	v_fma_f64 v[74:75], v[94:95], s[54:55], v[78:79]
	v_mul_f64 v[78:79], v[134:135], s[44:45]
	v_add_f64 v[8:9], v[84:85], v[8:9]
	v_mul_f64 v[84:85], v[100:101], s[20:21]
	v_add_f64 v[10:11], v[74:75], v[10:11]
	v_fma_f64 v[86:87], v[92:93], s[22:23], -v[84:85]
	v_fma_f64 v[74:75], v[92:93], s[22:23], v[84:85]
	v_mul_f64 v[84:85], v[138:139], s[24:25]
	v_add_f64 v[62:63], v[86:87], v[62:63]
	v_mul_f64 v[86:87], v[124:125], s[30:31]
	v_add_f64 v[54:55], v[74:75], v[54:55]
	v_fma_f64 v[96:97], v[104:105], s[56:57], v[86:87]
	v_fma_f64 v[74:75], v[104:105], s[34:35], v[86:87]
	v_mul_f64 v[86:87], v[134:135], s[26:27]
	v_add_f64 v[8:9], v[96:97], v[8:9]
	v_mul_f64 v[96:97], v[106:107], s[56:57]
	v_add_f64 v[10:11], v[74:75], v[10:11]
	v_mul_f64 v[74:75], v[140:141], s[10:11]
	v_fma_f64 v[100:101], v[98:99], s[30:31], -v[96:97]
	v_fma_f64 v[36:37], v[98:99], s[30:31], v[96:97]
	v_fma_f64 v[34:35], v[128:129], s[48:49], v[74:75]
	;; [unrolled: 1-line block ×3, first 2 shown]
	v_fma_f64 v[96:97], v[114:115], s[18:19], -v[78:79]
	v_fma_f64 v[78:79], v[114:115], s[18:19], v[78:79]
	v_add_f64 v[62:63], v[100:101], v[62:63]
	v_mul_f64 v[100:101], v[142:143], s[16:17]
	v_add_f64 v[36:37], v[36:37], v[54:55]
	v_mul_f64 v[54:55], v[120:121], s[36:37]
	v_fma_f64 v[102:103], v[118:119], s[4:5], v[100:101]
	v_fma_f64 v[30:31], v[118:119], s[50:51], v[100:101]
	v_fma_f64 v[28:29], v[116:117], s[28:29], -v[54:55]
	v_fma_f64 v[54:55], v[116:117], s[28:29], v[54:55]
	v_fma_f64 v[100:101], v[122:123], s[26:27], v[84:85]
	;; [unrolled: 1-line block ×3, first 2 shown]
	v_add_f64 v[8:9], v[102:103], v[8:9]
	v_mul_f64 v[102:103], v[126:127], s[4:5]
	v_add_f64 v[10:11], v[30:31], v[10:11]
	v_mul_f64 v[30:31], v[120:121], s[8:9]
	v_add_f64 v[8:9], v[22:23], v[8:9]
	v_fma_f64 v[20:21], v[108:109], s[16:17], v[102:103]
	v_fma_f64 v[106:107], v[108:109], s[16:17], -v[102:103]
	v_mul_f64 v[22:23], v[134:135], s[54:55]
	v_add_f64 v[10:11], v[38:39], v[10:11]
	v_fma_f64 v[38:39], v[112:113], s[28:29], -v[72:73]
	v_fma_f64 v[72:73], v[112:113], s[28:29], v[72:73]
	v_add_f64 v[8:9], v[34:35], v[8:9]
	v_add_f64 v[20:21], v[20:21], v[36:37]
	v_fma_f64 v[36:37], v[116:117], s[10:11], -v[30:31]
	v_add_f64 v[62:63], v[106:107], v[62:63]
	v_fma_f64 v[30:31], v[116:117], s[10:11], v[30:31]
	v_fma_f64 v[90:91], v[114:115], s[22:23], v[22:23]
	v_add_f64 v[10:11], v[74:75], v[10:11]
	v_fma_f64 v[74:75], v[114:115], s[24:25], -v[86:87]
	v_fma_f64 v[92:93], v[114:115], s[22:23], -v[22:23]
	v_fma_f64 v[86:87], v[114:115], s[24:25], v[86:87]
	v_add_f64 v[34:35], v[202:203], v[32:33]
	v_add_f64 v[32:33], v[204:205], v[44:45]
	;; [unrolled: 1-line block ×5, first 2 shown]
	v_mul_f64 v[36:37], v[138:139], s[22:23]
	v_add_f64 v[28:29], v[28:29], v[62:63]
	v_fma_f64 v[62:63], v[128:129], s[36:37], v[70:71]
	v_mul_f64 v[54:55], v[138:139], s[18:19]
	v_add_f64 v[12:13], v[30:31], v[12:13]
	v_fma_f64 v[30:31], v[112:113], s[10:11], -v[76:77]
	v_fma_f64 v[76:77], v[112:113], s[10:11], v[76:77]
	v_fma_f64 v[70:71], v[128:129], s[46:47], v[70:71]
	v_add_f64 v[14:15], v[38:39], v[14:15]
	v_fma_f64 v[88:89], v[122:123], s[20:21], v[36:37]
	v_fma_f64 v[36:37], v[122:123], s[54:55], v[36:37]
	v_add_f64 v[62:63], v[62:63], v[2:3]
	;; [unrolled: 3-line block ×3, first 2 shown]
	v_add_f64 v[76:77], v[76:77], v[20:21]
	v_add_f64 v[70:71], v[70:71], v[0:1]
	;; [unrolled: 1-line block ×11, first 2 shown]
	v_mul_lo_u16 v4, v206, 17
	v_mov_b32_e32 v5, 4
	v_add_f64 v[48:49], v[96:97], v[14:15]
	v_add_f64 v[2:3], v[88:89], v[6:7]
	;; [unrolled: 1-line block ×11, first 2 shown]
	v_lshlrev_b32_sdwa v4, v5, v4 dst_sel:DWORD dst_unused:UNUSED_PAD src0_sel:DWORD src1_sel:WORD_0
	ds_write_b128 v4, v[24:27]
	ds_write_b128 v4, v[28:31] offset:16
	ds_write_b128 v4, v[32:35] offset:32
	;; [unrolled: 1-line block ×12, first 2 shown]
	s_clause 0x3
	buffer_load_dword v0, off, s[60:63], 0 offset:56
	buffer_load_dword v1, off, s[60:63], 0 offset:60
	buffer_load_dword v2, off, s[60:63], 0 offset:64
	buffer_load_dword v3, off, s[60:63], 0 offset:68
	s_waitcnt vmcnt(0)
	ds_write_b128 v4, v[0:3] offset:208
	s_clause 0x3
	buffer_load_dword v0, off, s[60:63], 0 offset:40
	buffer_load_dword v1, off, s[60:63], 0 offset:44
	buffer_load_dword v2, off, s[60:63], 0 offset:48
	buffer_load_dword v3, off, s[60:63], 0 offset:52
	s_waitcnt vmcnt(0)
	ds_write_b128 v4, v[0:3] offset:224
	;; [unrolled: 7-line block ×4, first 2 shown]
.LBB0_7:
	s_or_b32 exec_lo, exec_lo, s33
	v_and_b32_e32 v4, 0xff, v206
	v_add_co_u32 v3, null, 0x99, v206
	v_mov_b32_e32 v2, 0xf0f1
	v_add_nc_u32_e32 v0, 0x132, v206
	v_mul_lo_u16 v1, 0xf1, v4
	s_load_dwordx4 s[4:7], s[0:1], 0x0
	s_waitcnt lgkmcnt(0)
	v_mul_u32_u24_sdwa v5, v3, v2 dst_sel:DWORD dst_unused:UNUSED_PAD src0_sel:WORD_0 src1_sel:DWORD
	v_mul_u32_u24_sdwa v6, v0, v2 dst_sel:DWORD dst_unused:UNUSED_PAD src0_sel:WORD_0 src1_sel:DWORD
	v_lshrrev_b16 v52, 12, v1
	s_barrier
	buffer_gl0_inv
	v_lshrrev_b32_e32 v53, 20, v5
	v_lshrrev_b32_e32 v55, 20, v6
	v_mul_lo_u16 v5, v52, 17
	v_add_nc_u32_e32 v1, 0x1cb, v206
	v_mul_lo_u16 v4, 0xa1, v4
	v_mul_lo_u16 v6, v53, 17
	;; [unrolled: 1-line block ×3, first 2 shown]
	v_sub_nc_u16 v5, v206, v5
	v_mul_u32_u24_sdwa v2, v1, v2 dst_sel:DWORD dst_unused:UNUSED_PAD src0_sel:WORD_0 src1_sel:DWORD
	v_lshrrev_b16 v87, 13, v4
	v_sub_nc_u16 v20, v3, v6
	v_sub_nc_u16 v21, v0, v7
	v_and_b32_e32 v54, 0xff, v5
	v_lshrrev_b32_e32 v56, 20, v2
	v_mov_b32_e32 v2, 4
	v_lshlrev_b16 v6, 1, v20
	v_mov_b32_e32 v23, 51
	v_lshlrev_b32_e32 v7, 5, v54
	v_mul_lo_u16 v5, v56, 17
	v_lshlrev_b32_sdwa v230, v2, v206 dst_sel:DWORD dst_unused:UNUSED_PAD src0_sel:DWORD src1_sel:WORD_0
	v_lshlrev_b32_sdwa v6, v2, v6 dst_sel:DWORD dst_unused:UNUSED_PAD src0_sel:DWORD src1_sel:WORD_0
	v_mul_lo_u16 v83, v87, 51
	s_clause 0x1
	global_load_dwordx4 v[36:39], v7, s[2:3]
	global_load_dwordx4 v[28:31], v7, s[2:3] offset:16
	v_sub_nc_u16 v22, v1, v5
	v_lshlrev_b16 v5, 1, v21
	s_clause 0x1
	global_load_dwordx4 v[40:43], v6, s[2:3]
	global_load_dwordx4 v[32:35], v6, s[2:3] offset:16
	v_mul_u32_u24_sdwa v23, v52, v23 dst_sel:DWORD dst_unused:UNUSED_PAD src0_sel:WORD_0 src1_sel:DWORD
	v_sub_nc_u16 v52, v206, v83
	v_lshlrev_b16 v7, 1, v22
	v_lshlrev_b32_sdwa v5, v2, v5 dst_sel:DWORD dst_unused:UNUSED_PAD src0_sel:DWORD src1_sel:WORD_0
	v_mad_u16 v20, v53, 51, v20
	v_mad_u16 v21, v55, 51, v21
	s_mov_b32 s8, 0xe8584caa
	v_lshlrev_b32_sdwa v6, v2, v7 dst_sel:DWORD dst_unused:UNUSED_PAD src0_sel:DWORD src1_sel:WORD_0
	s_clause 0x3
	global_load_dwordx4 v[134:137], v5, s[2:3]
	global_load_dwordx4 v[24:27], v5, s[2:3] offset:16
	global_load_dwordx4 v[48:51], v6, s[2:3]
	global_load_dwordx4 v[44:47], v6, s[2:3] offset:16
	ds_read_b128 v[57:60], v230 offset:9792
	ds_read_b128 v[61:64], v230 offset:19584
	v_mov_b32_e32 v5, 0xa0a1
	ds_read_b128 v[65:68], v230 offset:12240
	ds_read_b128 v[69:72], v230 offset:22032
	ds_read_b128 v[73:76], v230
	ds_read_b128 v[77:80], v230 offset:2448
	ds_read_b128 v[90:93], v230 offset:14688
	;; [unrolled: 1-line block ×7, first 2 shown]
	s_mov_b32 s9, 0x3febb67a
	s_mov_b32 s11, 0xbfebb67a
	v_mul_u32_u24_sdwa v6, v3, v5 dst_sel:DWORD dst_unused:UNUSED_PAD src0_sel:WORD_0 src1_sel:DWORD
	v_mul_u32_u24_sdwa v7, v0, v5 dst_sel:DWORD dst_unused:UNUSED_PAD src0_sel:WORD_0 src1_sel:DWORD
	;; [unrolled: 1-line block ×3, first 2 shown]
	s_mov_b32 s10, s8
	v_mad_u16 v22, v56, 51, v22
	v_lshrrev_b32_e32 v85, 21, v6
	v_lshrrev_b32_e32 v84, 21, v7
	;; [unrolled: 1-line block ×3, first 2 shown]
	v_lshlrev_b32_sdwa v21, v2, v21 dst_sel:DWORD dst_unused:UNUSED_PAD src0_sel:DWORD src1_sel:WORD_0
	v_lshlrev_b32_e32 v229, 4, v206
	v_mul_lo_u16 v88, v85, 51
	v_mul_lo_u16 v132, v84, 51
	;; [unrolled: 1-line block ×3, first 2 shown]
	v_sub_nc_u16 v89, v3, v88
	v_sub_nc_u16 v88, v0, v132
	;; [unrolled: 1-line block ×3, first 2 shown]
	v_lshlrev_b16 v138, 5, v3
	v_mad_u16 v3, 0x99, v86, v3
	s_waitcnt vmcnt(7) lgkmcnt(11)
	v_mul_f64 v[4:5], v[59:60], v[38:39]
	s_waitcnt vmcnt(6) lgkmcnt(10)
	v_mul_f64 v[6:7], v[63:64], v[30:31]
	v_mul_f64 v[10:11], v[61:62], v[30:31]
	;; [unrolled: 1-line block ×3, first 2 shown]
	s_waitcnt vmcnt(4) lgkmcnt(8)
	v_mul_f64 v[14:15], v[71:72], v[34:35]
	v_mul_f64 v[114:115], v[69:70], v[34:35]
	;; [unrolled: 1-line block ×4, first 2 shown]
	s_waitcnt vmcnt(3) lgkmcnt(5)
	v_mul_f64 v[116:117], v[92:93], v[136:137]
	s_waitcnt vmcnt(2) lgkmcnt(3)
	v_mul_f64 v[118:119], v[100:101], v[26:27]
	v_mul_f64 v[120:121], v[90:91], v[136:137]
	;; [unrolled: 1-line block ×3, first 2 shown]
	s_waitcnt vmcnt(1)
	v_mul_f64 v[124:125], v[96:97], v[50:51]
	s_waitcnt vmcnt(0) lgkmcnt(2)
	v_mul_f64 v[126:127], v[104:105], v[46:47]
	v_mul_f64 v[128:129], v[94:95], v[50:51]
	;; [unrolled: 1-line block ×3, first 2 shown]
	v_fma_f64 v[4:5], v[57:58], v[36:37], -v[4:5]
	v_fma_f64 v[6:7], v[61:62], v[28:29], -v[6:7]
	buffer_store_dword v28, off, s[60:63], 0 offset:88 ; 4-byte Folded Spill
	buffer_store_dword v29, off, s[60:63], 0 offset:92 ; 4-byte Folded Spill
	;; [unrolled: 1-line block ×4, first 2 shown]
	v_fma_f64 v[8:9], v[59:60], v[36:37], v[8:9]
	v_fma_f64 v[14:15], v[69:70], v[32:33], -v[14:15]
	buffer_store_dword v32, off, s[60:63], 0 offset:104 ; 4-byte Folded Spill
	buffer_store_dword v33, off, s[60:63], 0 offset:108 ; 4-byte Folded Spill
	buffer_store_dword v34, off, s[60:63], 0 offset:112 ; 4-byte Folded Spill
	buffer_store_dword v35, off, s[60:63], 0 offset:116 ; 4-byte Folded Spill
	v_fma_f64 v[12:13], v[65:66], v[40:41], -v[12:13]
	v_fma_f64 v[57:58], v[67:68], v[40:41], v[81:82]
	v_fma_f64 v[61:62], v[90:91], v[134:135], -v[116:117]
	buffer_store_dword v134, off, s[60:63], 0 offset:120 ; 4-byte Folded Spill
	buffer_store_dword v135, off, s[60:63], 0 offset:124 ; 4-byte Folded Spill
	;; [unrolled: 1-line block ×4, first 2 shown]
	v_and_b32_e32 v90, 0xff, v52
	v_lshlrev_b16 v136, 5, v89
	v_fma_f64 v[69:70], v[94:95], v[48:49], -v[124:125]
	v_lshlrev_b16 v137, 5, v88
	v_fma_f64 v[81:82], v[96:97], v[48:49], v[128:129]
	v_add_f64 v[52:53], v[4:5], v[6:7]
	s_waitcnt lgkmcnt(0)
	v_add_f64 v[128:129], v[112:113], v[81:82]
	v_fma_f64 v[10:11], v[63:64], v[28:29], v[10:11]
	v_fma_f64 v[63:64], v[98:99], v[24:25], -v[118:119]
	buffer_store_dword v24, off, s[60:63], 0 offset:72 ; 4-byte Folded Spill
	buffer_store_dword v25, off, s[60:63], 0 offset:76 ; 4-byte Folded Spill
	;; [unrolled: 1-line block ×4, first 2 shown]
	v_fma_f64 v[59:60], v[71:72], v[32:33], v[114:115]
	v_fma_f64 v[71:72], v[102:103], v[44:45], -v[126:127]
	v_add_f64 v[118:119], v[77:78], v[12:13]
	v_add_f64 v[126:127], v[110:111], v[69:70]
	s_waitcnt_vscnt null, 0x0
	s_barrier
	buffer_gl0_inv
	v_lshlrev_b32_sdwa v26, v2, v3 dst_sel:DWORD dst_unused:UNUSED_PAD src0_sel:DWORD src1_sel:WORD_0
	v_fma_f64 v[65:66], v[92:93], v[134:135], v[120:121]
	v_fma_f64 v[91:92], v[104:105], v[44:45], v[130:131]
	v_add_f64 v[93:94], v[12:13], v[14:15]
	v_add_f64 v[120:121], v[79:80], v[57:58]
	v_add_f64 v[12:13], v[12:13], -v[14:15]
	v_add_f64 v[103:104], v[8:9], -v[10:11]
	v_add_f64 v[97:98], v[61:62], v[63:64]
	v_add_f64 v[134:135], v[61:62], -v[63:64]
	v_add_f64 v[95:96], v[57:58], v[59:60]
	v_add_f64 v[114:115], v[69:70], v[71:72]
	v_add_f64 v[130:131], v[57:58], -v[59:60]
	v_add_f64 v[56:57], v[118:119], v[14:15]
	v_add_f64 v[124:125], v[108:109], v[65:66]
	;; [unrolled: 1-line block ×3, first 2 shown]
	v_fma_f64 v[93:94], v[93:94], -0.5, v[77:78]
	v_add_f64 v[58:59], v[120:121], v[59:60]
	v_fma_f64 v[97:98], v[97:98], -0.5, v[106:107]
	v_fma_f64 v[95:96], v[95:96], -0.5, v[79:80]
	v_fma_f64 v[78:79], v[12:13], s[10:11], v[95:96]
	v_fma_f64 v[67:68], v[100:101], v[24:25], v[122:123]
	v_add_lshl_u32 v24, v23, v54, 4
	v_add_f64 v[54:55], v[8:9], v[10:11]
	v_add_f64 v[99:100], v[73:74], v[4:5]
	;; [unrolled: 1-line block ×3, first 2 shown]
	v_add_f64 v[4:5], v[4:5], -v[6:7]
	v_add_f64 v[122:123], v[106:107], v[61:62]
	v_fma_f64 v[73:74], v[52:53], -0.5, v[73:74]
	v_add_f64 v[105:106], v[81:82], -v[91:92]
	v_fma_f64 v[80:81], v[130:131], s[10:11], v[93:94]
	v_fma_f64 v[82:83], v[12:13], s[8:9], v[95:96]
	v_lshlrev_b32_sdwa v23, v2, v20 dst_sel:DWORD dst_unused:UNUSED_PAD src0_sel:DWORD src1_sel:WORD_0
	v_lshlrev_b32_sdwa v20, v2, v22 dst_sel:DWORD dst_unused:UNUSED_PAD src0_sel:DWORD src1_sel:WORD_0
	v_add_f64 v[101:102], v[65:66], v[67:68]
	v_add_f64 v[132:133], v[65:66], -v[67:68]
	v_fma_f64 v[75:76], v[54:55], -0.5, v[75:76]
	v_add_f64 v[52:53], v[99:100], v[6:7]
	v_fma_f64 v[6:7], v[116:117], -0.5, v[112:113]
	v_add_f64 v[54:55], v[8:9], v[10:11]
	v_add_f64 v[60:61], v[122:123], v[63:64]
	v_add_f64 v[62:63], v[124:125], v[67:68]
	v_add_f64 v[64:65], v[126:127], v[71:72]
	v_add_f64 v[66:67], v[128:129], v[91:92]
	v_mov_b32_e32 v8, 0x99
	v_mul_u32_u24_sdwa v8, v87, v8 dst_sel:DWORD dst_unused:UNUSED_PAD src0_sel:WORD_0 src1_sel:DWORD
	v_add_lshl_u32 v29, v8, v90, 4
	v_fma_f64 v[101:102], v[101:102], -0.5, v[108:109]
	v_add_f64 v[107:108], v[69:70], -v[71:72]
	v_fma_f64 v[109:110], v[114:115], -0.5, v[110:111]
	v_fma_f64 v[68:69], v[103:104], s[8:9], v[73:74]
	v_fma_f64 v[72:73], v[103:104], s[10:11], v[73:74]
	;; [unrolled: 1-line block ×7, first 2 shown]
	v_and_b32_e32 v4, 0xffff, v136
	ds_write_b128 v24, v[52:55]
	ds_write_b128 v24, v[68:71] offset:272
	v_fma_f64 v[97:98], v[134:135], s[8:9], v[101:102]
	v_fma_f64 v[99:100], v[105:106], s[8:9], v[109:110]
	;; [unrolled: 1-line block ×6, first 2 shown]
	v_lshlrev_b32_e32 v6, 5, v90
	v_add_co_u32 v4, s0, s2, v4
	v_and_b32_e32 v7, 0xffff, v137
	v_add_co_ci_u32_e64 v5, null, s3, 0, s0
	buffer_store_dword v24, off, s[60:63], 0 offset:176 ; 4-byte Folded Spill
	ds_write_b128 v24, v[72:75] offset:544
	ds_write_b128 v23, v[56:59]
	ds_write_b128 v23, v[76:79] offset:272
	buffer_store_dword v23, off, s[60:63], 0 offset:168 ; 4-byte Folded Spill
	ds_write_b128 v23, v[80:83] offset:544
	ds_write_b128 v21, v[60:63]
	ds_write_b128 v21, v[91:94] offset:272
	;; [unrolled: 4-line block ×3, first 2 shown]
	buffer_store_dword v20, off, s[60:63], 0 offset:152 ; 4-byte Folded Spill
	ds_write_b128 v20, v[103:106] offset:544
	s_waitcnt lgkmcnt(0)
	s_waitcnt_vscnt null, 0x0
	s_barrier
	buffer_gl0_inv
	s_clause 0x1
	global_load_dwordx4 v[56:59], v6, s[2:3] offset:560
	global_load_dwordx4 v[68:71], v6, s[2:3] offset:544
	v_and_b32_e32 v6, 0xffff, v138
	s_clause 0x1
	global_load_dwordx4 v[52:55], v[4:5], off offset:560
	global_load_dwordx4 v[60:63], v[4:5], off offset:544
	v_add_co_u32 v4, s0, s2, v7
	v_add_co_ci_u32_e64 v5, null, s3, 0, s0
	v_add_co_u32 v6, s0, s2, v6
	v_add_co_ci_u32_e64 v7, null, s3, 0, s0
	s_clause 0x3
	global_load_dwordx4 v[72:75], v[4:5], off offset:544
	global_load_dwordx4 v[64:67], v[4:5], off offset:560
	;; [unrolled: 1-line block ×4, first 2 shown]
	v_mov_b32_e32 v4, 0x358b
	v_add_nc_u32_e32 v6, 0x264, v206
	v_add_nc_u32_e32 v7, 0x2fd, v206
	v_add_co_u32 v11, s0, s2, v229
	v_mul_u32_u24_sdwa v9, v1, v4 dst_sel:DWORD dst_unused:UNUSED_PAD src0_sel:WORD_0 src1_sel:DWORD
	v_mul_u32_u24_sdwa v10, v6, v4 dst_sel:DWORD dst_unused:UNUSED_PAD src0_sel:WORD_0 src1_sel:DWORD
	;; [unrolled: 1-line block ×4, first 2 shown]
	ds_read_b128 v[91:94], v230 offset:9792
	ds_read_b128 v[99:102], v230 offset:12240
	v_lshrrev_b32_e32 v9, 21, v9
	v_lshrrev_b32_e32 v10, 21, v10
	ds_read_b128 v[95:98], v230 offset:19584
	ds_read_b128 v[103:106], v230 offset:22032
	;; [unrolled: 1-line block ×4, first 2 shown]
	v_mul_lo_u16 v9, 0x99, v9
	v_mul_lo_u16 v10, 0x99, v10
	ds_read_b128 v[111:114], v230 offset:17136
	v_add_co_ci_u32_e64 v12, null, s3, 0, s0
	v_sub_nc_u16 v1, v1, v9
	v_sub_nc_u16 v6, v6, v10
	v_mad_u16 v9, 0x99, v85, v89
	v_mad_u16 v10, 0x99, v84, v88
	ds_read_b128 v[84:87], v230 offset:14688
	v_lshrrev_b32_e32 v14, 21, v5
	v_add_co_u32 v4, s0, 0x800, v11
	v_lshrrev_b32_e32 v11, 21, v13
	v_add_co_ci_u32_e64 v5, s0, 0, v12, s0
	v_mul_lo_u16 v12, 0x99, v14
	v_lshlrev_b32_sdwa v24, v2, v1 dst_sel:DWORD dst_unused:UNUSED_PAD src0_sel:DWORD src1_sel:WORD_0
	v_mul_lo_u16 v11, 0x99, v11
	v_lshlrev_b32_sdwa v228, v2, v6 dst_sel:DWORD dst_unused:UNUSED_PAD src0_sel:DWORD src1_sel:WORD_0
	v_lshlrev_b32_sdwa v28, v2, v9 dst_sel:DWORD dst_unused:UNUSED_PAD src0_sel:DWORD src1_sel:WORD_0
	v_sub_nc_u16 v0, v0, v12
	v_lshlrev_b32_sdwa v27, v2, v10 dst_sel:DWORD dst_unused:UNUSED_PAD src0_sel:DWORD src1_sel:WORD_0
	v_sub_nc_u16 v7, v7, v11
	v_lshlrev_b32_sdwa v25, v2, v0 dst_sel:DWORD dst_unused:UNUSED_PAD src0_sel:DWORD src1_sel:WORD_0
	v_lshlrev_b32_sdwa v227, v2, v7 dst_sel:DWORD dst_unused:UNUSED_PAD src0_sel:DWORD src1_sel:WORD_0
	v_add_co_u32 v20, s0, s2, v25
	v_add_co_ci_u32_e64 v21, null, s3, 0, s0
	v_add_co_u32 v22, s0, s2, v24
	v_add_co_ci_u32_e64 v23, null, s3, 0, s0
	;; [unrolled: 2-line block ×4, first 2 shown]
	s_waitcnt vmcnt(7) lgkmcnt(5)
	v_mul_f64 v[6:7], v[97:98], v[58:59]
	s_waitcnt vmcnt(6)
	v_mul_f64 v[0:1], v[93:94], v[70:71]
	v_mul_f64 v[2:3], v[91:92], v[70:71]
	v_mul_f64 v[8:9], v[95:96], v[58:59]
	s_waitcnt vmcnt(4)
	v_mul_f64 v[10:11], v[101:102], v[62:63]
	v_mul_f64 v[12:13], v[99:100], v[62:63]
	s_waitcnt lgkmcnt(4)
	v_mul_f64 v[14:15], v[105:106], v[54:55]
	v_mul_f64 v[88:89], v[103:104], v[54:55]
	s_waitcnt vmcnt(3) lgkmcnt(0)
	v_mul_f64 v[119:120], v[86:87], v[74:75]
	v_mul_f64 v[121:122], v[84:85], v[74:75]
	s_waitcnt vmcnt(2)
	v_mul_f64 v[123:124], v[109:110], v[66:67]
	v_mul_f64 v[125:126], v[107:108], v[66:67]
	s_waitcnt vmcnt(1)
	;; [unrolled: 3-line block ×3, first 2 shown]
	v_mul_f64 v[131:132], v[117:118], v[78:79]
	v_mul_f64 v[133:134], v[115:116], v[78:79]
	v_fma_f64 v[6:7], v[95:96], v[56:57], -v[6:7]
	v_fma_f64 v[135:136], v[91:92], v[68:69], -v[0:1]
	v_fma_f64 v[137:138], v[93:94], v[68:69], v[2:3]
	v_fma_f64 v[8:9], v[97:98], v[56:57], v[8:9]
	v_fma_f64 v[10:11], v[99:100], v[60:61], -v[10:11]
	v_fma_f64 v[12:13], v[101:102], v[60:61], v[12:13]
	v_fma_f64 v[14:15], v[103:104], v[52:53], -v[14:15]
	v_fma_f64 v[96:97], v[105:106], v[52:53], v[88:89]
	ds_read_b128 v[0:3], v230
	v_fma_f64 v[98:99], v[84:85], v[72:73], -v[119:120]
	v_fma_f64 v[100:101], v[86:87], v[72:73], v[121:122]
	ds_read_b128 v[84:87], v230 offset:2448
	v_fma_f64 v[102:103], v[107:108], v[64:65], -v[123:124]
	v_fma_f64 v[104:105], v[109:110], v[64:65], v[125:126]
	v_fma_f64 v[106:107], v[111:112], v[80:81], -v[127:128]
	v_fma_f64 v[108:109], v[115:116], v[76:77], -v[131:132]
	v_fma_f64 v[110:111], v[113:114], v[80:81], v[129:130]
	v_fma_f64 v[112:113], v[117:118], v[76:77], v[133:134]
	ds_read_b128 v[88:91], v230 offset:4896
	ds_read_b128 v[92:95], v230 offset:7344
	v_add_co_u32 v128, s0, 0x800, v20
	v_add_co_ci_u32_e64 v129, s0, 0, v21, s0
	v_add_f64 v[114:115], v[135:136], v[6:7]
	v_add_f64 v[116:117], v[137:138], v[8:9]
	v_add_f64 v[130:131], v[137:138], -v[8:9]
	s_waitcnt lgkmcnt(0)
	v_add_f64 v[118:119], v[10:11], v[14:15]
	v_add_f64 v[120:121], v[12:13], v[96:97]
	;; [unrolled: 1-line block ×4, first 2 shown]
	v_add_f64 v[134:135], v[135:136], -v[6:7]
	v_add_f64 v[143:144], v[86:87], v[12:13]
	v_add_f64 v[141:142], v[84:85], v[10:11]
	;; [unrolled: 1-line block ×4, first 2 shown]
	v_add_f64 v[12:13], v[12:13], -v[96:97]
	v_add_f64 v[132:133], v[106:107], v[108:109]
	v_add_f64 v[145:146], v[88:89], v[98:99]
	;; [unrolled: 1-line block ×5, first 2 shown]
	v_add_f64 v[10:11], v[10:11], -v[14:15]
	v_add_f64 v[153:154], v[100:101], -v[104:105]
	v_add_f64 v[155:156], v[98:99], -v[102:103]
	v_fma_f64 v[114:115], v[114:115], -0.5, v[0:1]
	v_fma_f64 v[116:117], v[116:117], -0.5, v[2:3]
	v_add_f64 v[157:158], v[110:111], -v[112:113]
	v_add_f64 v[159:160], v[106:107], -v[108:109]
	v_fma_f64 v[118:119], v[118:119], -0.5, v[84:85]
	v_fma_f64 v[120:121], v[120:121], -0.5, v[86:87]
	v_add_f64 v[0:1], v[124:125], v[6:7]
	v_add_f64 v[151:152], v[94:95], v[110:111]
	;; [unrolled: 1-line block ×5, first 2 shown]
	v_fma_f64 v[122:123], v[122:123], -0.5, v[88:89]
	v_fma_f64 v[126:127], v[126:127], -0.5, v[90:91]
	s_barrier
	v_fma_f64 v[132:133], v[132:133], -0.5, v[92:93]
	v_add_f64 v[88:89], v[145:146], v[102:103]
	v_fma_f64 v[6:7], v[139:140], -0.5, v[94:95]
	v_add_f64 v[90:91], v[147:148], v[104:105]
	v_add_f64 v[92:93], v[149:150], v[108:109]
	buffer_gl0_inv
	v_fma_f64 v[96:97], v[130:131], s[8:9], v[114:115]
	v_fma_f64 v[98:99], v[134:135], s[10:11], v[116:117]
	;; [unrolled: 1-line block ×7, first 2 shown]
	v_add_f64 v[94:95], v[151:152], v[112:113]
	v_fma_f64 v[106:107], v[10:11], s[10:11], v[120:121]
	ds_write_b128 v29, v[0:3]
	ds_write_b128 v29, v[96:99] offset:816
	v_fma_f64 v[116:117], v[153:154], s[10:11], v[122:123]
	v_fma_f64 v[114:115], v[155:156], s[10:11], v[126:127]
	;; [unrolled: 1-line block ×8, first 2 shown]
	v_add_co_u32 v6, s0, 0x800, v22
	v_add_co_ci_u32_e64 v7, s0, 0, v23, s0
	v_add_co_u32 v8, s0, 0x800, v161
	v_add_co_ci_u32_e64 v9, s0, 0, v162, s0
	;; [unrolled: 2-line block ×3, first 2 shown]
	buffer_store_dword v29, off, s[60:63], 0 offset:208 ; 4-byte Folded Spill
	ds_write_b128 v29, v[100:103] offset:1632
	ds_write_b128 v28, v[84:87]
	ds_write_b128 v28, v[104:107] offset:816
	buffer_store_dword v28, off, s[60:63], 0 offset:200 ; 4-byte Folded Spill
	ds_write_b128 v28, v[108:111] offset:1632
	ds_write_b128 v27, v[88:91]
	ds_write_b128 v27, v[112:115] offset:816
	;; [unrolled: 4-line block ×3, first 2 shown]
	buffer_store_dword v26, off, s[60:63], 0 offset:184 ; 4-byte Folded Spill
	ds_write_b128 v26, v[124:127] offset:1632
	s_waitcnt lgkmcnt(0)
	s_waitcnt_vscnt null, 0x0
	s_barrier
	buffer_gl0_inv
	s_clause 0x4
	global_load_dwordx4 v[96:99], v[4:5], off offset:128
	global_load_dwordx4 v[84:87], v[128:129], off offset:128
	;; [unrolled: 1-line block ×5, first 2 shown]
	ds_read_b128 v[0:3], v230 offset:14688
	ds_read_b128 v[104:107], v230 offset:17136
	ds_read_b128 v[108:111], v230 offset:19584
	ds_read_b128 v[112:115], v230 offset:22032
	ds_read_b128 v[116:119], v230 offset:24480
	ds_read_b128 v[120:123], v230 offset:26928
	ds_read_b128 v[124:127], v230
	ds_read_b128 v[128:131], v230 offset:2448
	ds_read_b128 v[132:135], v230 offset:4896
	;; [unrolled: 1-line block ×3, first 2 shown]
	s_waitcnt vmcnt(2) lgkmcnt(6)
	v_mul_f64 v[140:141], v[114:115], v[102:103]
	v_mul_f64 v[142:143], v[112:113], v[102:103]
	s_waitcnt vmcnt(1) lgkmcnt(5)
	v_mul_f64 v[144:145], v[118:119], v[90:91]
	v_mul_f64 v[146:147], v[116:117], v[90:91]
	;; [unrolled: 1-line block ×6, first 2 shown]
	s_waitcnt vmcnt(0) lgkmcnt(4)
	v_mul_f64 v[148:149], v[122:123], v[94:95]
	v_mul_f64 v[150:151], v[120:121], v[94:95]
	;; [unrolled: 1-line block ×4, first 2 shown]
	v_fma_f64 v[140:141], v[112:113], v[100:101], -v[140:141]
	v_fma_f64 v[142:143], v[114:115], v[100:101], v[142:143]
	v_fma_f64 v[144:145], v[116:117], v[88:89], -v[144:145]
	v_fma_f64 v[146:147], v[118:119], v[88:89], v[146:147]
	;; [unrolled: 2-line block ×4, first 2 shown]
	v_fma_f64 v[148:149], v[120:121], v[92:93], -v[148:149]
	ds_read_b128 v[0:3], v230 offset:9792
	ds_read_b128 v[104:107], v230 offset:12240
	v_fma_f64 v[150:151], v[122:123], v[92:93], v[150:151]
	v_fma_f64 v[12:13], v[108:109], v[84:85], -v[12:13]
	v_fma_f64 v[14:15], v[110:111], v[84:85], v[14:15]
	s_waitcnt lgkmcnt(0)
	s_barrier
	buffer_gl0_inv
	v_add_f64 v[120:121], v[136:137], -v[140:141]
	v_add_f64 v[122:123], v[138:139], -v[142:143]
	;; [unrolled: 1-line block ×12, first 2 shown]
	v_mad_u64_u32 v[4:5], null, 0x50, v206, s[2:3]
	v_fma_f64 v[136:137], v[136:137], 2.0, -v[120:121]
	v_fma_f64 v[138:139], v[138:139], 2.0, -v[122:123]
	v_add_co_u32 v6, s0, 0x1210, v4
	v_fma_f64 v[124:125], v[124:125], 2.0, -v[108:109]
	v_fma_f64 v[126:127], v[126:127], 2.0, -v[110:111]
	;; [unrolled: 1-line block ×10, first 2 shown]
	v_add_co_ci_u32_e64 v7, s0, 0, v5, s0
	v_add_co_u32 v8, s0, 0x1000, v4
	v_add_co_ci_u32_e64 v9, s0, 0, v5, s0
	ds_write_b128 v230, v[108:111] offset:2448
	ds_write_b128 v230, v[112:115] offset:7344
	ds_write_b128 v230, v[124:127]
	ds_write_b128 v230, v[128:131] offset:4896
	ds_write_b128 v25, v[132:135] offset:9792
	buffer_store_dword v25, off, s[60:63], 0 offset:144 ; 4-byte Folded Spill
	ds_write_b128 v25, v[116:119] offset:12240
	ds_write_b128 v24, v[136:139] offset:14688
	buffer_store_dword v24, off, s[60:63], 0 offset:136 ; 4-byte Folded Spill
	ds_write_b128 v24, v[120:123] offset:17136
	ds_write_b128 v228, v[0:3] offset:19584
	;; [unrolled: 1-line block ×5, first 2 shown]
	v_add_co_u32 v0, s0, 0x41e0, v4
	v_add_co_ci_u32_e64 v1, s0, 0, v5, s0
	s_waitcnt lgkmcnt(0)
	s_waitcnt_vscnt null, 0x0
	s_barrier
	buffer_gl0_inv
	s_clause 0x1
	global_load_dwordx4 v[108:111], v[6:7], off offset:32
	global_load_dwordx4 v[136:139], v[8:9], off offset:592
	v_add_co_u32 v2, s0, 0x4000, v4
	v_add_co_ci_u32_e64 v3, s0, 0, v5, s0
	s_clause 0x7
	global_load_dwordx4 v[132:135], v[0:1], off offset:32
	global_load_dwordx4 v[140:143], v[2:3], off offset:544
	;; [unrolled: 1-line block ×8, first 2 shown]
	ds_read_b128 v[0:3], v230 offset:14688
	ds_read_b128 v[144:147], v230 offset:24480
	;; [unrolled: 1-line block ×8, first 2 shown]
	s_waitcnt vmcnt(9) lgkmcnt(7)
	v_mul_f64 v[4:5], v[2:3], v[110:111]
	v_mul_f64 v[6:7], v[0:1], v[110:111]
	s_waitcnt vmcnt(8) lgkmcnt(6)
	v_mul_f64 v[8:9], v[144:145], v[138:139]
	v_mul_f64 v[10:11], v[146:147], v[138:139]
	;; [unrolled: 3-line block ×6, first 2 shown]
	v_fma_f64 v[4:5], v[0:1], v[108:109], -v[4:5]
	v_fma_f64 v[6:7], v[2:3], v[108:109], v[6:7]
	v_fma_f64 v[8:9], v[146:147], v[136:137], v[8:9]
	v_fma_f64 v[10:11], v[144:145], v[136:137], -v[10:11]
	v_fma_f64 v[12:13], v[148:149], v[132:133], -v[12:13]
	v_fma_f64 v[14:15], v[150:151], v[132:133], v[14:15]
	v_fma_f64 v[154:155], v[154:155], v[140:141], v[172:173]
	v_fma_f64 v[152:153], v[152:153], v[140:141], -v[174:175]
	ds_read_b128 v[0:3], v230 offset:12240
	ds_read_b128 v[144:147], v230 offset:22032
	s_waitcnt vmcnt(3) lgkmcnt(2)
	v_mul_f64 v[148:149], v[170:171], v[130:131]
	v_mul_f64 v[150:151], v[168:169], v[130:131]
	s_waitcnt vmcnt(2)
	v_mul_f64 v[172:173], v[166:167], v[126:127]
	v_mul_f64 v[174:175], v[164:165], v[126:127]
	v_fma_f64 v[156:157], v[156:157], v[120:121], -v[176:177]
	v_fma_f64 v[158:159], v[158:159], v[120:121], v[178:179]
	v_fma_f64 v[160:161], v[160:161], v[104:105], -v[180:181]
	v_fma_f64 v[162:163], v[162:163], v[104:105], v[182:183]
	v_add_f64 v[176:177], v[6:7], v[8:9]
	v_add_f64 v[178:179], v[4:5], v[10:11]
	s_waitcnt vmcnt(1) lgkmcnt(1)
	v_mul_f64 v[184:185], v[2:3], v[118:119]
	v_mul_f64 v[186:187], v[0:1], v[118:119]
	s_waitcnt vmcnt(0) lgkmcnt(0)
	v_mul_f64 v[188:189], v[146:147], v[114:115]
	v_mul_f64 v[190:191], v[144:145], v[114:115]
	v_add_f64 v[180:181], v[14:15], v[154:155]
	v_add_f64 v[182:183], v[12:13], v[152:153]
	v_fma_f64 v[168:169], v[168:169], v[128:129], -v[148:149]
	v_fma_f64 v[170:171], v[170:171], v[128:129], v[150:151]
	v_fma_f64 v[164:165], v[164:165], v[124:125], -v[172:173]
	v_fma_f64 v[166:167], v[166:167], v[124:125], v[174:175]
	v_add_f64 v[172:173], v[6:7], -v[8:9]
	v_add_f64 v[174:175], v[4:5], -v[10:11]
	ds_read_b128 v[148:151], v230
	v_add_f64 v[4:5], v[156:157], v[4:5]
	v_add_f64 v[6:7], v[158:159], v[6:7]
	v_fma_f64 v[176:177], v[176:177], -0.5, v[158:159]
	v_fma_f64 v[178:179], v[178:179], -0.5, v[156:157]
	v_fma_f64 v[184:185], v[0:1], v[116:117], -v[184:185]
	v_fma_f64 v[186:187], v[2:3], v[116:117], v[186:187]
	ds_read_b128 v[0:3], v230 offset:2448
	v_fma_f64 v[144:145], v[144:145], v[112:113], -v[188:189]
	v_fma_f64 v[146:147], v[146:147], v[112:113], v[190:191]
	v_add_f64 v[188:189], v[14:15], -v[154:155]
	v_add_f64 v[190:191], v[12:13], -v[152:153]
	v_fma_f64 v[180:181], v[180:181], -0.5, v[162:163]
	v_fma_f64 v[182:183], v[182:183], -0.5, v[160:161]
	v_add_f64 v[192:193], v[168:169], v[164:165]
	v_add_f64 v[196:197], v[170:171], v[166:167]
	v_add_f64 v[198:199], v[170:171], -v[166:167]
	s_waitcnt lgkmcnt(1)
	v_add_f64 v[170:171], v[150:151], v[170:171]
	v_add_f64 v[194:195], v[148:149], v[168:169]
	v_add_f64 v[168:169], v[168:169], -v[164:165]
	v_add_f64 v[12:13], v[160:161], v[12:13]
	v_add_f64 v[14:15], v[162:163], v[14:15]
	;; [unrolled: 1-line block ×4, first 2 shown]
	v_fma_f64 v[200:201], v[174:175], s[10:11], v[176:177]
	v_fma_f64 v[202:203], v[172:173], s[10:11], v[178:179]
	;; [unrolled: 1-line block ×4, first 2 shown]
	s_waitcnt lgkmcnt(0)
	v_add_f64 v[156:157], v[0:1], v[184:185]
	v_add_f64 v[158:159], v[2:3], v[186:187]
	;; [unrolled: 1-line block ×4, first 2 shown]
	v_add_f64 v[160:161], v[186:187], -v[146:147]
	v_add_f64 v[162:163], v[184:185], -v[144:145]
	v_fma_f64 v[204:205], v[190:191], s[10:11], v[180:181]
	v_fma_f64 v[207:208], v[188:189], s[10:11], v[182:183]
	;; [unrolled: 1-line block ×4, first 2 shown]
	v_fma_f64 v[148:149], v[192:193], -0.5, v[148:149]
	v_fma_f64 v[150:151], v[196:197], -0.5, v[150:151]
	v_add_f64 v[166:167], v[170:171], v[166:167]
	v_add_f64 v[164:165], v[194:195], v[164:165]
	;; [unrolled: 1-line block ×4, first 2 shown]
	v_mul_f64 v[184:185], v[200:201], s[8:9]
	v_mul_f64 v[186:187], v[202:203], -0.5
	v_mul_f64 v[188:189], v[172:173], s[10:11]
	v_mul_f64 v[190:191], v[174:175], -0.5
	v_add_f64 v[8:9], v[156:157], v[144:145]
	v_add_f64 v[10:11], v[158:159], v[146:147]
	v_fma_f64 v[0:1], v[176:177], -0.5, v[0:1]
	v_fma_f64 v[2:3], v[178:179], -0.5, v[2:3]
	v_mul_f64 v[170:171], v[204:205], s[8:9]
	v_mul_f64 v[176:177], v[207:208], -0.5
	v_mul_f64 v[178:179], v[182:183], s[10:11]
	v_mul_f64 v[192:193], v[180:181], -0.5
	v_fma_f64 v[152:153], v[198:199], s[8:9], v[148:149]
	v_fma_f64 v[148:149], v[198:199], s[10:11], v[148:149]
	;; [unrolled: 1-line block ×4, first 2 shown]
	v_add_f64 v[144:145], v[164:165], v[4:5]
	v_add_f64 v[146:147], v[166:167], v[6:7]
	v_add_f64 v[168:169], v[164:165], -v[4:5]
	v_fma_f64 v[172:173], v[172:173], 0.5, v[184:185]
	v_fma_f64 v[174:175], v[174:175], s[8:9], v[186:187]
	v_fma_f64 v[184:185], v[200:201], 0.5, v[188:189]
	v_fma_f64 v[186:187], v[202:203], s[10:11], v[190:191]
	v_add_f64 v[156:157], v[8:9], v[12:13]
	v_add_f64 v[158:159], v[10:11], v[14:15]
	v_fma_f64 v[194:195], v[160:161], s[8:9], v[0:1]
	v_fma_f64 v[0:1], v[160:161], s[10:11], v[0:1]
	;; [unrolled: 1-line block ×4, first 2 shown]
	v_fma_f64 v[198:199], v[182:183], 0.5, v[170:171]
	v_fma_f64 v[200:201], v[180:181], s[8:9], v[176:177]
	v_fma_f64 v[202:203], v[204:205], 0.5, v[178:179]
	v_fma_f64 v[192:193], v[207:208], s[10:11], v[192:193]
	v_add_f64 v[170:171], v[166:167], -v[6:7]
	v_add_f64 v[176:177], v[8:9], -v[12:13]
	;; [unrolled: 1-line block ×3, first 2 shown]
	v_add_f64 v[188:189], v[152:153], v[172:173]
	v_add_f64 v[180:181], v[148:149], v[174:175]
	;; [unrolled: 1-line block ×4, first 2 shown]
	v_add_f64 v[160:161], v[152:153], -v[172:173]
	v_add_f64 v[164:165], v[148:149], -v[174:175]
	;; [unrolled: 1-line block ×4, first 2 shown]
	v_add_f64 v[172:173], v[194:195], v[198:199]
	v_add_f64 v[184:185], v[0:1], v[200:201]
	;; [unrolled: 1-line block ×4, first 2 shown]
	v_add_f64 v[152:153], v[194:195], -v[198:199]
	v_add_f64 v[148:149], v[0:1], -v[200:201]
	;; [unrolled: 1-line block ×4, first 2 shown]
	ds_write_b128 v230, v[144:147]
	ds_write_b128 v230, v[168:171] offset:14688
	ds_write_b128 v230, v[156:159] offset:2448
	ds_write_b128 v230, v[176:179] offset:17136
	ds_write_b128 v230, v[188:191] offset:4896
	ds_write_b128 v230, v[180:183] offset:9792
	ds_write_b128 v230, v[160:163] offset:19584
	ds_write_b128 v230, v[164:167] offset:24480
	ds_write_b128 v230, v[172:175] offset:7344
	ds_write_b128 v230, v[184:187] offset:12240
	ds_write_b128 v230, v[152:155] offset:22032
	ds_write_b128 v230, v[148:151] offset:26928
	s_waitcnt lgkmcnt(0)
	s_barrier
	buffer_gl0_inv
	s_and_saveexec_b32 s1, vcc_lo
	s_cbranch_execz .LBB0_9
; %bb.8:
	v_add_co_u32 v0, s0, s12, v255
	v_add_co_ci_u32_e64 v1, null, s13, 0, s0
	v_add_co_u32 v2, s0, 0x7000, v0
	v_add_co_ci_u32_e64 v3, s0, 0, v1, s0
	global_load_dwordx4 v[192:195], v[2:3], off offset:704
	v_add_co_u32 v2, s0, 0x72c0, v0
	v_add_co_ci_u32_e64 v3, s0, 0, v1, s0
	global_load_dwordx4 v[196:199], v[2:3], off offset:1728
	v_add_co_u32 v2, s0, 0x8000, v0
	v_add_co_ci_u32_e64 v3, s0, 0, v1, s0
	s_clause 0x1
	global_load_dwordx4 v[200:203], v[2:3], off offset:64
	global_load_dwordx4 v[207:210], v[2:3], off offset:1792
	v_add_co_u32 v2, s0, 0x8800, v0
	v_add_co_ci_u32_e64 v3, s0, 0, v1, s0
	ds_read_b128 v[247:250], v230
	global_load_dwordx4 v[211:214], v[2:3], off offset:1472
	v_add_co_u32 v2, s0, 0x9000, v0
	v_add_co_ci_u32_e64 v3, s0, 0, v1, s0
	global_load_dwordx4 v[215:218], v[2:3], off offset:1152
	v_add_co_u32 v2, s0, 0x9800, v0
	v_add_co_ci_u32_e64 v3, s0, 0, v1, s0
	;; [unrolled: 3-line block ×4, first 2 shown]
	s_clause 0x1
	global_load_dwordx4 v[243:246], v[2:3], off offset:192
	global_load_dwordx4 v[251:254], v[2:3], off offset:1920
	v_add_co_u32 v2, s0, 0xb000, v0
	v_add_co_ci_u32_e64 v3, s0, 0, v1, s0
	global_load_dwordx4 v[231:234], v[2:3], off offset:1600
	s_waitcnt vmcnt(10) lgkmcnt(0)
	v_mul_f64 v[4:5], v[249:250], v[194:195]
	v_mul_f64 v[6:7], v[247:248], v[194:195]
	v_fma_f64 v[247:248], v[247:248], v[192:193], -v[4:5]
	v_fma_f64 v[249:250], v[249:250], v[192:193], v[6:7]
	v_add_co_u32 v6, s0, 0xb800, v0
	v_add_co_ci_u32_e64 v7, s0, 0, v1, s0
	ds_write_b128 v230, v[247:250]
	ds_read_b128 v[192:195], v229 offset:1728
	ds_read_b128 v[247:250], v229 offset:3456
	;; [unrolled: 1-line block ×4, first 2 shown]
	s_waitcnt vmcnt(9) lgkmcnt(3)
	v_mul_f64 v[2:3], v[194:195], v[198:199]
	v_mul_f64 v[4:5], v[192:193], v[198:199]
	s_waitcnt vmcnt(8) lgkmcnt(2)
	v_mul_f64 v[8:9], v[249:250], v[202:203]
	v_mul_f64 v[10:11], v[247:248], v[202:203]
	global_load_dwordx4 v[202:205], v[6:7], off offset:1280
	v_add_co_u32 v6, s0, 0xc000, v0
	v_add_co_ci_u32_e64 v7, s0, 0, v1, s0
	v_fma_f64 v[192:193], v[192:193], v[196:197], -v[2:3]
	v_fma_f64 v[194:195], v[194:195], v[196:197], v[4:5]
	v_fma_f64 v[196:197], v[247:248], v[200:201], -v[8:9]
	v_fma_f64 v[198:199], v[249:250], v[200:201], v[10:11]
	ds_read_b128 v[247:250], v229 offset:6912
	s_waitcnt vmcnt(8) lgkmcnt(2)
	v_mul_f64 v[2:3], v[237:238], v[209:210]
	v_mul_f64 v[4:5], v[235:236], v[209:210]
	v_fma_f64 v[235:236], v[235:236], v[207:208], -v[2:3]
	v_fma_f64 v[237:238], v[237:238], v[207:208], v[4:5]
	s_waitcnt vmcnt(7) lgkmcnt(0)
	v_mul_f64 v[2:3], v[249:250], v[213:214]
	v_mul_f64 v[4:5], v[247:248], v[213:214]
	global_load_dwordx4 v[207:210], v[6:7], off offset:960
	v_fma_f64 v[247:248], v[247:248], v[211:212], -v[2:3]
	v_fma_f64 v[249:250], v[249:250], v[211:212], v[4:5]
	ds_read_b128 v[211:214], v229 offset:10368
	s_waitcnt vmcnt(7)
	v_mul_f64 v[6:7], v[241:242], v[217:218]
	v_mul_f64 v[2:3], v[239:240], v[217:218]
	v_add_co_u32 v4, s0, 0xc800, v0
	v_add_co_ci_u32_e64 v5, s0, 0, v1, s0
	v_fma_f64 v[239:240], v[239:240], v[215:216], -v[6:7]
	v_fma_f64 v[241:242], v[241:242], v[215:216], v[2:3]
	global_load_dwordx4 v[215:218], v[4:5], off offset:640
	s_waitcnt vmcnt(7) lgkmcnt(0)
	v_mul_f64 v[2:3], v[213:214], v[221:222]
	v_mul_f64 v[4:5], v[211:212], v[221:222]
	v_add_co_u32 v6, s0, 0xd000, v0
	v_add_co_ci_u32_e64 v7, s0, 0, v1, s0
	v_add_co_u32 v0, s0, 0xd800, v0
	v_add_co_ci_u32_e64 v1, s0, 0, v1, s0
	v_fma_f64 v[211:212], v[211:212], v[219:220], -v[2:3]
	v_fma_f64 v[213:214], v[213:214], v[219:220], v[4:5]
	ds_read_b128 v[219:222], v229 offset:12096
	s_waitcnt vmcnt(6) lgkmcnt(0)
	v_mul_f64 v[2:3], v[221:222], v[225:226]
	v_mul_f64 v[4:5], v[219:220], v[225:226]
	v_fma_f64 v[219:220], v[219:220], v[223:224], -v[2:3]
	v_fma_f64 v[221:222], v[221:222], v[223:224], v[4:5]
	ds_read_b128 v[223:226], v229 offset:13824
	s_waitcnt vmcnt(5) lgkmcnt(0)
	v_mul_f64 v[2:3], v[225:226], v[245:246]
	v_mul_f64 v[4:5], v[223:224], v[245:246]
	;; [unrolled: 6-line block ×7, first 2 shown]
	v_fma_f64 v[207:208], v[207:208], v[215:216], -v[2:3]
	v_fma_f64 v[209:210], v[209:210], v[215:216], v[4:5]
	global_load_dwordx4 v[215:218], v[6:7], off offset:320
	ds_read_b128 v[2:5], v229 offset:24192
	s_waitcnt vmcnt(0) lgkmcnt(0)
	v_mul_f64 v[6:7], v[4:5], v[217:218]
	v_mul_f64 v[8:9], v[2:3], v[217:218]
	v_fma_f64 v[2:3], v[2:3], v[215:216], -v[6:7]
	v_fma_f64 v[4:5], v[4:5], v[215:216], v[8:9]
	global_load_dwordx4 v[215:218], v[0:1], off
	ds_read_b128 v[6:9], v229 offset:25920
	s_waitcnt vmcnt(0) lgkmcnt(0)
	v_mul_f64 v[10:11], v[8:9], v[217:218]
	v_mul_f64 v[12:13], v[6:7], v[217:218]
	v_fma_f64 v[6:7], v[6:7], v[215:216], -v[10:11]
	v_fma_f64 v[8:9], v[8:9], v[215:216], v[12:13]
	global_load_dwordx4 v[215:218], v[0:1], off offset:1728
	ds_read_b128 v[10:13], v229 offset:27648
	s_waitcnt vmcnt(0) lgkmcnt(0)
	v_mul_f64 v[0:1], v[12:13], v[217:218]
	v_mul_f64 v[14:15], v[10:11], v[217:218]
	v_fma_f64 v[10:11], v[10:11], v[215:216], -v[0:1]
	v_fma_f64 v[12:13], v[12:13], v[215:216], v[14:15]
	ds_write_b128 v229, v[192:195] offset:1728
	ds_write_b128 v229, v[196:199] offset:3456
	;; [unrolled: 1-line block ×16, first 2 shown]
.LBB0_9:
	s_or_b32 exec_lo, exec_lo, s1
	s_waitcnt lgkmcnt(0)
	s_barrier
	buffer_gl0_inv
	s_and_saveexec_b32 s0, vcc_lo
	s_cbranch_execz .LBB0_11
; %bb.10:
	ds_read_b128 v[144:147], v230
	ds_read_b128 v[188:191], v230 offset:1728
	ds_read_b128 v[180:183], v230 offset:3456
	;; [unrolled: 1-line block ×13, first 2 shown]
	s_waitcnt lgkmcnt(0)
	buffer_store_dword v0, off, s[60:63], 0 offset:56 ; 4-byte Folded Spill
	buffer_store_dword v1, off, s[60:63], 0 offset:60 ; 4-byte Folded Spill
	buffer_store_dword v2, off, s[60:63], 0 offset:64 ; 4-byte Folded Spill
	buffer_store_dword v3, off, s[60:63], 0 offset:68 ; 4-byte Folded Spill
	ds_read_b128 v[0:3], v230 offset:24192
	s_waitcnt lgkmcnt(0)
	buffer_store_dword v0, off, s[60:63], 0 offset:40 ; 4-byte Folded Spill
	buffer_store_dword v1, off, s[60:63], 0 offset:44 ; 4-byte Folded Spill
	buffer_store_dword v2, off, s[60:63], 0 offset:48 ; 4-byte Folded Spill
	buffer_store_dword v3, off, s[60:63], 0 offset:52 ; 4-byte Folded Spill
	ds_read_b128 v[0:3], v230 offset:25920
	s_waitcnt lgkmcnt(0)
	buffer_store_dword v0, off, s[60:63], 0 offset:24 ; 4-byte Folded Spill
	buffer_store_dword v1, off, s[60:63], 0 offset:28 ; 4-byte Folded Spill
	buffer_store_dword v2, off, s[60:63], 0 offset:32 ; 4-byte Folded Spill
	buffer_store_dword v3, off, s[60:63], 0 offset:36 ; 4-byte Folded Spill
	ds_read_b128 v[0:3], v230 offset:27648
	s_waitcnt lgkmcnt(0)
	buffer_store_dword v0, off, s[60:63], 0 offset:8 ; 4-byte Folded Spill
	buffer_store_dword v1, off, s[60:63], 0 offset:12 ; 4-byte Folded Spill
	;; [unrolled: 1-line block ×4, first 2 shown]
.LBB0_11:
	s_or_b32 exec_lo, exec_lo, s0
	s_waitcnt_vscnt null, 0x0
	s_barrier
	buffer_gl0_inv
	s_and_saveexec_b32 s33, vcc_lo
	s_cbranch_execz .LBB0_13
; %bb.12:
	s_clause 0x3
	buffer_load_dword v24, off, s[60:63], 0 offset:8
	buffer_load_dword v25, off, s[60:63], 0 offset:12
	;; [unrolled: 1-line block ×4, first 2 shown]
	buffer_store_dword v227, off, s[60:63], 0 offset:216 ; 4-byte Folded Spill
	buffer_store_dword v228, off, s[60:63], 0 offset:224 ; 4-byte Folded Spill
	s_clause 0xb
	buffer_load_dword v28, off, s[60:63], 0 offset:24
	buffer_load_dword v29, off, s[60:63], 0 offset:28
	;; [unrolled: 1-line block ×12, first 2 shown]
	v_add_f64 v[0:1], v[146:147], v[190:191]
	v_add_f64 v[2:3], v[144:145], v[188:189]
	s_mov_b32 s0, 0xacd6c6b4
	s_mov_b32 s1, 0xbfc7851a
	s_mov_b32 s8, 0x5d8e7cdc
	s_mov_b32 s2, 0x7faef3
	s_mov_b32 s9, 0x3fd71e95
	s_mov_b32 s3, 0xbfef7484
	s_mov_b32 s18, 0x4363dd80
	s_mov_b32 s10, 0x370991
	s_mov_b32 s19, 0xbfe0d888
	s_mov_b32 s11, 0x3fedd6d0
	s_mov_b32 s16, 0x910ea3b9
	s_mov_b32 s20, 0x2a9d6da3
	s_mov_b32 s17, 0xbfeb34fa
	s_mov_b32 s21, 0x3fe58eea
	v_add_f64 v[192:193], v[156:157], -v[148:149]
	v_add_f64 v[198:199], v[164:165], -v[16:17]
	;; [unrolled: 1-line block ×3, first 2 shown]
	s_mov_b32 s28, 0x6c9a05f6
	s_mov_b32 s22, 0x75d4884
	;; [unrolled: 1-line block ×3, first 2 shown]
	v_add_f64 v[0:1], v[0:1], v[182:183]
	v_add_f64 v[2:3], v[2:3], v[180:181]
	s_mov_b32 s23, 0x3fe7a5f6
	s_mov_b32 s30, 0x7c9e640b
	;; [unrolled: 1-line block ×20, first 2 shown]
	v_add_f64 v[0:1], v[0:1], v[170:171]
	v_add_f64 v[2:3], v[2:3], v[168:169]
	s_mov_b32 s44, s8
	v_mul_f64 v[243:244], v[192:193], s[0:1]
	s_mov_b32 s42, s38
	s_mov_b32 s51, 0xbfe58eea
	s_mov_b32 s50, s20
	s_mov_b32 s53, 0xbfeca52d
	s_mov_b32 s52, s30
	s_mov_b32 s55, 0x3fe0d888
	s_mov_b32 s54, s18
	v_add_f64 v[0:1], v[0:1], v[162:163]
	v_add_f64 v[2:3], v[2:3], v[160:161]
	v_add_f64 v[0:1], v[0:1], v[166:167]
	v_add_f64 v[2:3], v[2:3], v[164:165]
	v_add_f64 v[4:5], v[0:1], v[158:159]
	v_add_f64 v[6:7], v[2:3], v[156:157]
	v_add_f64 v[2:3], v[184:185], -v[176:177]
	v_add_f64 v[0:1], v[186:187], v[178:179]
	v_add_f64 v[4:5], v[4:5], v[174:175]
	;; [unrolled: 1-line block ×3, first 2 shown]
	v_mul_f64 v[251:252], v[2:3], s[38:39]
	v_add_f64 v[4:5], v[4:5], v[186:187]
	v_add_f64 v[6:7], v[6:7], v[184:185]
	;; [unrolled: 1-line block ×10, first 2 shown]
	s_waitcnt vmcnt(14)
	v_add_f64 v[227:228], v[188:189], -v[24:25]
	s_waitcnt vmcnt(12)
	v_add_f64 v[215:216], v[190:191], -v[26:27]
	;; [unrolled: 2-line block ×3, first 2 shown]
	v_add_f64 v[225:226], v[190:191], v[26:27]
	s_waitcnt vmcnt(8)
	v_add_f64 v[194:195], v[182:183], -v[30:31]
	v_add_f64 v[217:218], v[188:189], v[24:25]
	s_waitcnt vmcnt(6)
	v_add_f64 v[202:203], v[168:169], -v[20:21]
	;; [unrolled: 3-line block ×4, first 2 shown]
	v_add_f64 v[211:212], v[170:171], v[22:23]
	v_add_f64 v[209:210], v[168:169], v[20:21]
	;; [unrolled: 1-line block ×3, first 2 shown]
	s_waitcnt vmcnt(0)
	v_add_f64 v[184:185], v[162:163], -v[34:35]
	v_add_f64 v[188:189], v[172:173], -v[152:153]
	v_add_f64 v[190:191], v[158:159], v[150:151]
	v_add_f64 v[180:181], v[166:167], v[18:19]
	v_add_f64 v[170:171], v[186:187], -v[178:179]
	v_add_f64 v[223:224], v[162:163], v[34:35]
	v_add_f64 v[221:222], v[160:161], v[32:33]
	;; [unrolled: 1-line block ×3, first 2 shown]
	v_mul_f64 v[8:9], v[227:228], s[0:1]
	v_mul_f64 v[10:11], v[215:216], s[0:1]
	;; [unrolled: 1-line block ×3, first 2 shown]
	v_add_f64 v[176:177], v[174:175], -v[154:155]
	v_mul_f64 v[231:232], v[194:195], s[8:9]
	v_add_f64 v[178:179], v[156:157], v[148:149]
	v_mul_f64 v[233:234], v[202:203], s[18:19]
	v_add_f64 v[166:167], v[174:175], v[154:155]
	;; [unrolled: 2-line block ×3, first 2 shown]
	v_mul_f64 v[156:157], v[182:183], s[20:21]
	v_mul_f64 v[18:19], v[202:203], s[44:45]
	v_add_f64 v[4:5], v[4:5], v[34:35]
	v_add_f64 v[6:7], v[6:7], v[32:33]
	v_mul_f64 v[247:248], v[188:189], s[20:21]
	v_fma_f64 v[14:15], v[225:226], s[2:3], v[8:9]
	v_fma_f64 v[213:214], v[217:218], s[2:3], -v[10:11]
	v_fma_f64 v[8:9], v[225:226], s[2:3], -v[8:9]
	v_fma_f64 v[10:11], v[217:218], s[2:3], v[10:11]
	v_fma_f64 v[237:238], v[207:208], s[10:11], v[12:13]
	v_fma_f64 v[239:240], v[204:205], s[10:11], -v[231:232]
	v_fma_f64 v[12:13], v[207:208], s[10:11], -v[12:13]
	v_fma_f64 v[160:161], v[211:212], s[16:17], v[233:234]
	v_fma_f64 v[172:173], v[209:210], s[16:17], -v[235:236]
	v_fma_f64 v[174:175], v[211:212], s[16:17], -v[233:234]
	v_mul_f64 v[233:234], v[227:228], s[18:19]
	v_mul_f64 v[249:250], v[176:177], s[20:21]
	v_add_f64 v[4:5], v[4:5], v[22:23]
	v_add_f64 v[6:7], v[6:7], v[20:21]
	;; [unrolled: 1-line block ×5, first 2 shown]
	v_add_f64 v[213:214], v[158:159], -v[150:151]
	v_fma_f64 v[158:159], v[204:205], s[10:11], v[231:232]
	v_add_f64 v[10:11], v[144:145], v[10:11]
	v_fma_f64 v[231:232], v[209:210], s[16:17], v[235:236]
	v_mul_f64 v[235:236], v[196:197], s[30:31]
	v_add_f64 v[14:15], v[237:238], v[14:15]
	v_add_f64 v[162:163], v[239:240], v[241:242]
	;; [unrolled: 1-line block ×3, first 2 shown]
	v_mul_f64 v[12:13], v[184:185], s[20:21]
	v_fma_f64 v[237:238], v[225:226], s[16:17], v[233:234]
	v_add_f64 v[10:11], v[158:159], v[10:11]
	v_mul_f64 v[158:159], v[198:199], s[28:29]
	v_mul_f64 v[239:240], v[202:203], s[40:41]
	;; [unrolled: 1-line block ×4, first 2 shown]
	v_add_f64 v[14:15], v[160:161], v[14:15]
	v_fma_f64 v[160:161], v[223:224], s[22:23], v[156:157]
	v_add_f64 v[162:163], v[172:173], v[162:163]
	v_fma_f64 v[172:173], v[221:222], s[22:23], -v[12:13]
	v_add_f64 v[8:9], v[174:175], v[8:9]
	v_mul_f64 v[174:175], v[219:220], s[28:29]
	v_fma_f64 v[156:157], v[223:224], s[22:23], -v[156:157]
	v_add_f64 v[10:11], v[231:232], v[10:11]
	v_mul_f64 v[231:232], v[192:193], s[30:31]
	v_fma_f64 v[12:13], v[221:222], s[22:23], v[12:13]
	v_add_f64 v[14:15], v[160:161], v[14:15]
	v_fma_f64 v[160:161], v[180:181], s[24:25], v[158:159]
	v_add_f64 v[162:163], v[172:173], v[162:163]
	v_fma_f64 v[158:159], v[180:181], s[24:25], -v[158:159]
	v_fma_f64 v[172:173], v[186:187], s[24:25], -v[174:175]
	v_add_f64 v[8:9], v[156:157], v[8:9]
	v_mul_f64 v[156:157], v[213:214], s[30:31]
	v_fma_f64 v[174:175], v[186:187], s[24:25], v[174:175]
	v_add_f64 v[10:11], v[12:13], v[10:11]
	v_mul_f64 v[12:13], v[188:189], s[38:39]
	v_add_f64 v[14:15], v[160:161], v[14:15]
	v_fma_f64 v[160:161], v[190:191], s[26:27], v[231:232]
	v_fma_f64 v[231:232], v[190:191], s[26:27], -v[231:232]
	v_add_f64 v[162:163], v[172:173], v[162:163]
	v_add_f64 v[8:9], v[158:159], v[8:9]
	v_fma_f64 v[172:173], v[178:179], s[26:27], -v[156:157]
	v_mul_f64 v[158:159], v[176:177], s[38:39]
	v_fma_f64 v[156:157], v[178:179], s[26:27], v[156:157]
	v_add_f64 v[10:11], v[174:175], v[10:11]
	v_mul_f64 v[174:175], v[2:3], s[48:49]
	v_add_f64 v[14:15], v[160:161], v[14:15]
	v_fma_f64 v[160:161], v[166:167], s[36:37], v[12:13]
	v_fma_f64 v[12:13], v[166:167], s[36:37], -v[12:13]
	v_add_f64 v[8:9], v[231:232], v[8:9]
	v_add_f64 v[162:163], v[172:173], v[162:163]
	v_fma_f64 v[172:173], v[164:165], s[36:37], -v[158:159]
	v_mul_f64 v[231:232], v[170:171], s[48:49]
	v_add_f64 v[10:11], v[156:157], v[10:11]
	v_fma_f64 v[156:157], v[164:165], s[36:37], v[158:159]
	v_fma_f64 v[158:159], v[0:1], s[34:35], v[174:175]
	v_fma_f64 v[174:175], v[0:1], s[34:35], -v[174:175]
	v_add_f64 v[14:15], v[160:161], v[14:15]
	v_add_f64 v[8:9], v[12:13], v[8:9]
	v_mul_f64 v[12:13], v[194:195], s[30:31]
	v_add_f64 v[160:161], v[172:173], v[162:163]
	v_fma_f64 v[162:163], v[168:169], s[34:35], -v[231:232]
	v_mul_f64 v[172:173], v[215:216], s[18:19]
	v_fma_f64 v[231:232], v[168:169], s[34:35], v[231:232]
	v_add_f64 v[10:11], v[156:157], v[10:11]
	v_add_f64 v[154:155], v[158:159], v[14:15]
	;; [unrolled: 1-line block ×3, first 2 shown]
	v_fma_f64 v[14:15], v[217:218], s[16:17], -v[172:173]
	v_fma_f64 v[160:161], v[204:205], s[26:27], -v[12:13]
	v_fma_f64 v[12:13], v[204:205], s[26:27], v[12:13]
	buffer_store_dword v152, off, s[60:63], 0 offset:232 ; 4-byte Folded Spill
	buffer_store_dword v153, off, s[60:63], 0 offset:236 ; 4-byte Folded Spill
	buffer_store_dword v154, off, s[60:63], 0 offset:240 ; 4-byte Folded Spill
	buffer_store_dword v155, off, s[60:63], 0 offset:244 ; 4-byte Folded Spill
	v_add_f64 v[154:155], v[174:175], v[8:9]
	v_add_f64 v[152:153], v[231:232], v[10:11]
	v_fma_f64 v[8:9], v[207:208], s[26:27], v[235:236]
	v_add_f64 v[10:11], v[146:147], v[237:238]
	v_add_f64 v[14:15], v[144:145], v[14:15]
	v_mul_f64 v[174:175], v[200:201], s[40:41]
	v_mul_f64 v[231:232], v[184:185], s[46:47]
	;; [unrolled: 1-line block ×3, first 2 shown]
	buffer_store_dword v152, off, s[60:63], 0 offset:248 ; 4-byte Folded Spill
	buffer_store_dword v153, off, s[60:63], 0 offset:252 ; 4-byte Folded Spill
	;; [unrolled: 1-line block ×4, first 2 shown]
	v_add_f64 v[8:9], v[8:9], v[10:11]
	v_fma_f64 v[10:11], v[211:212], s[34:35], v[239:240]
	v_add_f64 v[14:15], v[160:161], v[14:15]
	v_add_f64 v[8:9], v[10:11], v[8:9]
	v_fma_f64 v[10:11], v[209:210], s[34:35], -v[174:175]
	v_add_f64 v[10:11], v[10:11], v[14:15]
	v_mul_f64 v[14:15], v[182:183], s[46:47]
	v_fma_f64 v[160:161], v[223:224], s[24:25], v[14:15]
	v_fma_f64 v[14:15], v[223:224], s[24:25], -v[14:15]
	v_add_f64 v[8:9], v[160:161], v[8:9]
	v_fma_f64 v[160:161], v[221:222], s[24:25], -v[231:232]
	v_add_f64 v[10:11], v[160:161], v[10:11]
	v_fma_f64 v[160:161], v[180:181], s[10:11], v[237:238]
	v_add_f64 v[8:9], v[160:161], v[8:9]
	v_fma_f64 v[160:161], v[186:187], s[10:11], -v[241:242]
	v_add_f64 v[10:11], v[160:161], v[10:11]
	v_fma_f64 v[160:161], v[190:191], s[2:3], v[243:244]
	;; [unrolled: 4-line block ×4, first 2 shown]
	v_add_f64 v[162:163], v[160:161], v[8:9]
	v_mul_f64 v[8:9], v[170:171], s[38:39]
	v_fma_f64 v[160:161], v[168:169], s[36:37], -v[8:9]
	v_fma_f64 v[8:9], v[168:169], s[36:37], v[8:9]
	v_add_f64 v[160:161], v[160:161], v[10:11]
	v_fma_f64 v[10:11], v[225:226], s[16:17], -v[233:234]
	v_fma_f64 v[233:234], v[207:208], s[26:27], -v[235:236]
	v_mul_f64 v[235:236], v[194:195], s[42:43]
	v_add_f64 v[10:11], v[146:147], v[10:11]
	v_fma_f64 v[16:17], v[204:205], s[36:37], -v[235:236]
	v_add_f64 v[10:11], v[233:234], v[10:11]
	v_fma_f64 v[233:234], v[211:212], s[34:35], -v[239:240]
	v_add_f64 v[10:11], v[233:234], v[10:11]
	v_add_f64 v[10:11], v[14:15], v[10:11]
	v_fma_f64 v[14:15], v[217:218], s[16:17], v[172:173]
	v_fma_f64 v[172:173], v[166:167], s[22:23], -v[247:248]
	v_add_f64 v[14:15], v[144:145], v[14:15]
	v_add_f64 v[12:13], v[12:13], v[14:15]
	v_fma_f64 v[14:15], v[180:181], s[10:11], -v[237:238]
	v_add_f64 v[10:11], v[14:15], v[10:11]
	v_fma_f64 v[14:15], v[209:210], s[34:35], v[174:175]
	v_fma_f64 v[174:175], v[164:165], s[22:23], v[249:250]
	v_add_f64 v[12:13], v[14:15], v[12:13]
	v_fma_f64 v[14:15], v[190:191], s[2:3], -v[243:244]
	v_mul_f64 v[243:244], v[215:216], s[52:53]
	v_add_f64 v[10:11], v[14:15], v[10:11]
	v_fma_f64 v[14:15], v[221:222], s[24:25], v[231:232]
	v_fma_f64 v[231:232], v[0:1], s[36:37], -v[251:252]
	v_fma_f64 v[251:252], v[217:218], s[26:27], -v[243:244]
	v_fma_f64 v[243:244], v[217:218], s[26:27], v[243:244]
	v_add_f64 v[10:11], v[172:173], v[10:11]
	v_add_f64 v[12:13], v[14:15], v[12:13]
	v_fma_f64 v[14:15], v[186:187], s[10:11], v[241:242]
	v_mul_f64 v[172:173], v[215:216], s[28:29]
	v_mul_f64 v[241:242], v[215:216], s[40:41]
	v_add_f64 v[243:244], v[144:145], v[243:244]
	v_add_f64 v[150:151], v[231:232], v[10:11]
	v_fma_f64 v[231:232], v[204:205], s[36:37], v[235:236]
	v_add_f64 v[12:13], v[14:15], v[12:13]
	v_fma_f64 v[14:15], v[178:179], s[2:3], v[245:246]
	v_mul_f64 v[245:246], v[215:216], s[50:51]
	v_fma_f64 v[249:250], v[217:218], s[34:35], -v[241:242]
	v_fma_f64 v[241:242], v[217:218], s[34:35], v[241:242]
	v_add_f64 v[12:13], v[14:15], v[12:13]
	v_mul_f64 v[14:15], v[227:228], s[28:29]
	v_fma_f64 v[253:254], v[217:218], s[22:23], v[245:246]
	v_fma_f64 v[245:246], v[217:218], s[22:23], -v[245:246]
	v_add_f64 v[241:242], v[144:145], v[241:242]
	v_add_f64 v[12:13], v[174:175], v[12:13]
	v_mul_f64 v[174:175], v[196:197], s[42:43]
	v_fma_f64 v[233:234], v[225:226], s[24:25], v[14:15]
	v_add_f64 v[245:246], v[144:145], v[245:246]
	v_add_f64 v[148:149], v[8:9], v[12:13]
	v_fma_f64 v[8:9], v[217:218], s[24:25], -v[172:173]
	v_fma_f64 v[10:11], v[207:208], s[36:37], v[174:175]
	v_fma_f64 v[12:13], v[225:226], s[24:25], -v[14:15]
	v_fma_f64 v[14:15], v[217:218], s[24:25], v[172:173]
	v_add_f64 v[172:173], v[146:147], v[233:234]
	v_fma_f64 v[174:175], v[207:208], s[36:37], -v[174:175]
	v_add_f64 v[8:9], v[144:145], v[8:9]
	v_add_f64 v[12:13], v[146:147], v[12:13]
	;; [unrolled: 1-line block ×4, first 2 shown]
	v_mul_f64 v[172:173], v[200:201], s[44:45]
	v_add_f64 v[8:9], v[16:17], v[8:9]
	v_fma_f64 v[16:17], v[211:212], s[10:11], v[18:19]
	v_add_f64 v[12:13], v[174:175], v[12:13]
	v_mul_f64 v[174:175], v[182:183], s[18:19]
	v_add_f64 v[14:15], v[231:232], v[14:15]
	v_fma_f64 v[231:232], v[209:210], s[10:11], -v[172:173]
	v_fma_f64 v[18:19], v[211:212], s[10:11], -v[18:19]
	v_fma_f64 v[172:173], v[209:210], s[10:11], v[172:173]
	v_add_f64 v[10:11], v[16:17], v[10:11]
	v_mul_f64 v[16:17], v[184:185], s[18:19]
	v_add_f64 v[8:9], v[231:232], v[8:9]
	v_fma_f64 v[231:232], v[223:224], s[16:17], v[174:175]
	v_add_f64 v[12:13], v[18:19], v[12:13]
	v_add_f64 v[14:15], v[172:173], v[14:15]
	v_mul_f64 v[172:173], v[198:199], s[48:49]
	v_fma_f64 v[174:175], v[223:224], s[16:17], -v[174:175]
	v_fma_f64 v[18:19], v[221:222], s[16:17], -v[16:17]
	v_fma_f64 v[16:17], v[221:222], s[16:17], v[16:17]
	v_add_f64 v[10:11], v[231:232], v[10:11]
	v_mul_f64 v[231:232], v[219:220], s[48:49]
	v_add_f64 v[12:13], v[174:175], v[12:13]
	v_mul_f64 v[174:175], v[192:193], s[50:51]
	v_add_f64 v[8:9], v[18:19], v[8:9]
	v_fma_f64 v[18:19], v[180:181], s[34:35], v[172:173]
	v_add_f64 v[14:15], v[16:17], v[14:15]
	v_fma_f64 v[172:173], v[180:181], s[34:35], -v[172:173]
	v_fma_f64 v[16:17], v[186:187], s[34:35], -v[231:232]
	v_fma_f64 v[231:232], v[186:187], s[34:35], v[231:232]
	v_add_f64 v[10:11], v[18:19], v[10:11]
	v_mul_f64 v[18:19], v[213:214], s[50:51]
	v_add_f64 v[12:13], v[172:173], v[12:13]
	v_add_f64 v[8:9], v[16:17], v[8:9]
	v_fma_f64 v[16:17], v[190:191], s[22:23], v[174:175]
	v_add_f64 v[14:15], v[231:232], v[14:15]
	v_mul_f64 v[231:232], v[188:189], s[0:1]
	v_fma_f64 v[174:175], v[190:191], s[22:23], -v[174:175]
	v_fma_f64 v[172:173], v[178:179], s[22:23], -v[18:19]
	v_fma_f64 v[18:19], v[178:179], s[22:23], v[18:19]
	v_add_f64 v[10:11], v[16:17], v[10:11]
	v_mul_f64 v[16:17], v[176:177], s[0:1]
	v_add_f64 v[12:13], v[174:175], v[12:13]
	v_mul_f64 v[174:175], v[2:3], s[30:31]
	v_add_f64 v[8:9], v[172:173], v[8:9]
	v_fma_f64 v[172:173], v[166:167], s[2:3], v[231:232]
	v_add_f64 v[14:15], v[18:19], v[14:15]
	v_fma_f64 v[231:232], v[166:167], s[2:3], -v[231:232]
	v_fma_f64 v[18:19], v[164:165], s[2:3], -v[16:17]
	v_fma_f64 v[16:17], v[164:165], s[2:3], v[16:17]
	v_add_f64 v[10:11], v[172:173], v[10:11]
	v_mul_f64 v[172:173], v[170:171], s[30:31]
	v_add_f64 v[12:13], v[231:232], v[12:13]
	v_add_f64 v[8:9], v[18:19], v[8:9]
	v_fma_f64 v[18:19], v[0:1], s[26:27], v[174:175]
	v_add_f64 v[233:234], v[16:17], v[14:15]
	v_mul_f64 v[14:15], v[227:228], s[38:39]
	v_fma_f64 v[174:175], v[0:1], s[26:27], -v[174:175]
	v_fma_f64 v[231:232], v[168:169], s[26:27], -v[172:173]
	v_fma_f64 v[172:173], v[168:169], s[26:27], v[172:173]
	v_add_f64 v[18:19], v[18:19], v[10:11]
	v_mul_f64 v[10:11], v[227:228], s[52:53]
	v_fma_f64 v[235:236], v[225:226], s[36:37], v[14:15]
	v_fma_f64 v[237:238], v[225:226], s[36:37], -v[14:15]
	v_add_f64 v[14:15], v[174:175], v[12:13]
	v_add_f64 v[16:17], v[231:232], v[8:9]
	v_mul_f64 v[8:9], v[227:228], s[40:41]
	v_mul_f64 v[231:232], v[227:228], s[50:51]
	;; [unrolled: 1-line block ×3, first 2 shown]
	v_add_f64 v[12:13], v[172:173], v[233:234]
	v_fma_f64 v[174:175], v[225:226], s[26:27], v[10:11]
	v_fma_f64 v[10:11], v[225:226], s[26:27], -v[10:11]
	v_fma_f64 v[172:173], v[225:226], s[34:35], v[8:9]
	v_fma_f64 v[8:9], v[225:226], s[34:35], -v[8:9]
	v_fma_f64 v[233:234], v[225:226], s[22:23], -v[231:232]
	;; [unrolled: 1-line block ×3, first 2 shown]
	v_fma_f64 v[231:232], v[225:226], s[22:23], v[231:232]
	v_fma_f64 v[225:226], v[225:226], s[10:11], v[227:228]
	v_mul_f64 v[227:228], v[215:216], s[38:39]
	v_mul_f64 v[215:216], v[215:216], s[44:45]
	v_add_f64 v[174:175], v[146:147], v[174:175]
	v_add_f64 v[172:173], v[146:147], v[172:173]
	;; [unrolled: 1-line block ×6, first 2 shown]
	v_fma_f64 v[247:248], v[217:218], s[36:37], -v[227:228]
	v_fma_f64 v[227:228], v[217:218], s[36:37], v[227:228]
	v_fma_f64 v[20:21], v[217:218], s[10:11], v[215:216]
	v_fma_f64 v[22:23], v[217:218], s[10:11], -v[215:216]
	v_add_f64 v[215:216], v[146:147], v[235:236]
	v_add_f64 v[217:218], v[146:147], v[237:238]
	;; [unrolled: 1-line block ×6, first 2 shown]
	v_mul_f64 v[4:5], v[196:197], s[54:55]
	v_mul_f64 v[10:11], v[202:203], s[20:21]
	v_add_f64 v[235:236], v[144:145], v[247:248]
	v_add_f64 v[247:248], v[144:145], v[251:252]
	;; [unrolled: 1-line block ×7, first 2 shown]
	v_fma_f64 v[6:7], v[207:208], s[16:17], v[4:5]
	v_fma_f64 v[4:5], v[207:208], s[16:17], -v[4:5]
	v_fma_f64 v[144:145], v[211:212], s[22:23], v[10:11]
	v_fma_f64 v[10:11], v[211:212], s[22:23], -v[10:11]
	v_add_f64 v[6:7], v[6:7], v[215:216]
	v_add_f64 v[4:5], v[4:5], v[217:218]
	v_add_f64 v[6:7], v[144:145], v[6:7]
	v_add_f64 v[4:5], v[10:11], v[4:5]
	v_mul_f64 v[10:11], v[182:183], s[52:53]
	v_mul_f64 v[144:145], v[194:195], s[54:55]
	v_fma_f64 v[217:218], v[223:224], s[26:27], v[10:11]
	v_fma_f64 v[215:216], v[204:205], s[16:17], -v[144:145]
	v_fma_f64 v[10:11], v[223:224], s[26:27], -v[10:11]
	v_add_f64 v[6:7], v[217:218], v[6:7]
	v_mul_f64 v[217:218], v[200:201], s[20:21]
	v_add_f64 v[215:216], v[215:216], v[235:236]
	v_add_f64 v[4:5], v[10:11], v[4:5]
	v_mul_f64 v[10:11], v[198:199], s[0:1]
	v_fma_f64 v[235:236], v[209:210], s[22:23], -v[217:218]
	v_add_f64 v[215:216], v[235:236], v[215:216]
	v_fma_f64 v[235:236], v[180:181], s[2:3], v[10:11]
	v_fma_f64 v[10:11], v[180:181], s[2:3], -v[10:11]
	v_add_f64 v[6:7], v[235:236], v[6:7]
	v_add_f64 v[4:5], v[10:11], v[4:5]
	v_mul_f64 v[10:11], v[192:193], s[48:49]
	v_mul_f64 v[235:236], v[184:185], s[52:53]
	v_fma_f64 v[154:155], v[190:191], s[34:35], v[10:11]
	v_fma_f64 v[152:153], v[221:222], s[26:27], -v[235:236]
	v_fma_f64 v[10:11], v[190:191], s[34:35], -v[10:11]
	v_fma_f64 v[235:236], v[221:222], s[26:27], v[235:236]
	v_add_f64 v[6:7], v[154:155], v[6:7]
	v_mul_f64 v[154:155], v[219:220], s[0:1]
	v_add_f64 v[152:153], v[152:153], v[215:216]
	v_add_f64 v[4:5], v[10:11], v[4:5]
	v_fma_f64 v[10:11], v[204:205], s[16:17], v[144:145]
	v_mul_f64 v[144:145], v[188:189], s[44:45]
	v_fma_f64 v[215:216], v[186:187], s[2:3], -v[154:155]
	v_fma_f64 v[154:155], v[186:187], s[2:3], v[154:155]
	v_add_f64 v[10:11], v[10:11], v[227:228]
	v_add_f64 v[152:153], v[215:216], v[152:153]
	v_fma_f64 v[215:216], v[166:167], s[10:11], v[144:145]
	v_fma_f64 v[144:145], v[166:167], s[10:11], -v[144:145]
	v_add_f64 v[227:228], v[215:216], v[6:7]
	v_mul_f64 v[6:7], v[213:214], s[48:49]
	v_add_f64 v[144:145], v[144:145], v[4:5]
	v_fma_f64 v[4:5], v[209:210], s[22:23], v[217:218]
	v_mul_f64 v[217:218], v[176:177], s[44:45]
	s_mov_b32 s49, 0x3fc7851a
	s_mov_b32 s48, s0
	v_fma_f64 v[215:216], v[178:179], s[34:35], -v[6:7]
	v_fma_f64 v[6:7], v[178:179], s[34:35], v[6:7]
	v_add_f64 v[4:5], v[4:5], v[10:11]
	v_add_f64 v[152:153], v[215:216], v[152:153]
	v_mul_f64 v[215:216], v[196:197], s[0:1]
	v_add_f64 v[4:5], v[235:236], v[4:5]
	v_fma_f64 v[10:11], v[207:208], s[2:3], v[215:216]
	v_fma_f64 v[215:216], v[207:208], s[2:3], -v[215:216]
	v_add_f64 v[4:5], v[154:155], v[4:5]
	v_add_f64 v[172:173], v[10:11], v[172:173]
	;; [unrolled: 1-line block ×3, first 2 shown]
	v_mul_f64 v[215:216], v[202:203], s[42:43]
	v_fma_f64 v[10:11], v[164:165], s[10:11], -v[217:218]
	v_add_f64 v[4:5], v[6:7], v[4:5]
	v_mul_f64 v[6:7], v[194:195], s[28:29]
	v_fma_f64 v[154:155], v[211:212], s[36:37], -v[215:216]
	v_add_f64 v[28:29], v[10:11], v[152:153]
	v_mul_f64 v[152:153], v[194:195], s[0:1]
	v_fma_f64 v[235:236], v[211:212], s[36:37], v[215:216]
	v_add_f64 v[8:9], v[154:155], v[8:9]
	v_mul_f64 v[154:155], v[182:183], s[8:9]
	v_fma_f64 v[10:11], v[204:205], s[2:3], -v[152:153]
	v_add_f64 v[172:173], v[235:236], v[172:173]
	v_mul_f64 v[235:236], v[200:201], s[42:43]
	v_fma_f64 v[152:153], v[204:205], s[2:3], v[152:153]
	v_fma_f64 v[215:216], v[223:224], s[10:11], v[154:155]
	v_add_f64 v[10:11], v[10:11], v[237:238]
	v_fma_f64 v[154:155], v[223:224], s[10:11], -v[154:155]
	v_fma_f64 v[237:238], v[209:210], s[36:37], -v[235:236]
	v_add_f64 v[152:153], v[152:153], v[241:242]
	v_fma_f64 v[235:236], v[209:210], s[36:37], v[235:236]
	v_add_f64 v[172:173], v[215:216], v[172:173]
	v_mul_f64 v[215:216], v[196:197], s[28:29]
	v_add_f64 v[8:9], v[154:155], v[8:9]
	v_add_f64 v[10:11], v[237:238], v[10:11]
	v_mul_f64 v[154:155], v[198:199], s[52:53]
	v_add_f64 v[152:153], v[235:236], v[152:153]
	v_mul_f64 v[235:236], v[202:203], s[48:49]
	v_fma_f64 v[237:238], v[207:208], s[24:25], v[215:216]
	v_fma_f64 v[215:216], v[207:208], s[24:25], -v[215:216]
	v_add_f64 v[174:175], v[237:238], v[174:175]
	v_mul_f64 v[237:238], v[184:185], s[8:9]
	v_add_f64 v[215:216], v[215:216], v[249:250]
	v_fma_f64 v[241:242], v[221:222], s[10:11], -v[237:238]
	v_add_f64 v[10:11], v[241:242], v[10:11]
	v_fma_f64 v[241:242], v[204:205], s[24:25], -v[6:7]
	v_fma_f64 v[6:7], v[204:205], s[24:25], v[6:7]
	v_add_f64 v[241:242], v[241:242], v[247:248]
	v_fma_f64 v[247:248], v[180:181], s[26:27], v[154:155]
	v_fma_f64 v[154:155], v[180:181], s[26:27], -v[154:155]
	v_add_f64 v[172:173], v[247:248], v[172:173]
	v_fma_f64 v[247:248], v[211:212], s[2:3], v[235:236]
	v_add_f64 v[8:9], v[154:155], v[8:9]
	v_mul_f64 v[154:155], v[192:193], s[18:19]
	v_add_f64 v[174:175], v[247:248], v[174:175]
	v_mul_f64 v[247:248], v[219:220], s[52:53]
	v_fma_f64 v[158:159], v[190:191], s[16:17], v[154:155]
	v_fma_f64 v[249:250], v[186:187], s[26:27], -v[247:248]
	v_add_f64 v[158:159], v[158:159], v[172:173]
	v_fma_f64 v[172:173], v[211:212], s[2:3], -v[235:236]
	v_mul_f64 v[235:236], v[182:183], s[42:43]
	v_add_f64 v[10:11], v[249:250], v[10:11]
	v_mul_f64 v[249:250], v[200:201], s[48:49]
	v_add_f64 v[172:173], v[172:173], v[215:216]
	v_fma_f64 v[215:216], v[221:222], s[10:11], v[237:238]
	v_mul_f64 v[237:238], v[213:214], s[18:19]
	v_fma_f64 v[156:157], v[209:210], s[2:3], -v[249:250]
	v_add_f64 v[152:153], v[215:216], v[152:153]
	v_fma_f64 v[215:216], v[223:224], s[36:37], v[235:236]
	v_add_f64 v[156:157], v[156:157], v[241:242]
	v_add_f64 v[241:242], v[6:7], v[243:244]
	v_mul_f64 v[243:244], v[184:185], s[42:43]
	v_add_f64 v[174:175], v[215:216], v[174:175]
	v_fma_f64 v[215:216], v[178:179], s[16:17], -v[237:238]
	v_fma_f64 v[6:7], v[221:222], s[36:37], -v[243:244]
	v_add_f64 v[10:11], v[215:216], v[10:11]
	v_add_f64 v[156:157], v[6:7], v[156:157]
	v_fma_f64 v[6:7], v[190:191], s[16:17], -v[154:155]
	v_add_f64 v[8:9], v[6:7], v[8:9]
	v_fma_f64 v[6:7], v[164:165], s[10:11], v[217:218]
	v_add_f64 v[6:7], v[6:7], v[4:5]
	v_mul_f64 v[4:5], v[188:189], s[46:47]
	v_fma_f64 v[154:155], v[166:167], s[24:25], v[4:5]
	v_fma_f64 v[4:5], v[166:167], s[24:25], -v[4:5]
	v_add_f64 v[215:216], v[154:155], v[158:159]
	v_fma_f64 v[158:159], v[186:187], s[26:27], v[247:248]
	v_fma_f64 v[154:155], v[223:224], s[36:37], -v[235:236]
	v_mul_f64 v[235:236], v[219:220], s[20:21]
	v_add_f64 v[152:153], v[158:159], v[152:153]
	v_mul_f64 v[158:159], v[198:199], s[20:21]
	v_add_f64 v[154:155], v[154:155], v[172:173]
	v_fma_f64 v[172:173], v[180:181], s[22:23], v[158:159]
	v_add_f64 v[172:173], v[172:173], v[174:175]
	v_mul_f64 v[174:175], v[176:177], s[46:47]
	v_fma_f64 v[217:218], v[164:165], s[24:25], -v[174:175]
	v_fma_f64 v[174:175], v[164:165], s[24:25], v[174:175]
	v_add_f64 v[217:218], v[217:218], v[10:11]
	v_fma_f64 v[10:11], v[209:210], s[2:3], v[249:250]
	v_add_f64 v[10:11], v[10:11], v[241:242]
	v_fma_f64 v[241:242], v[186:187], s[22:23], -v[235:236]
	v_add_f64 v[156:157], v[241:242], v[156:157]
	v_add_f64 v[241:242], v[4:5], v[8:9]
	v_fma_f64 v[8:9], v[178:179], s[16:17], v[237:238]
	v_fma_f64 v[4:5], v[180:181], s[22:23], -v[158:159]
	v_fma_f64 v[158:159], v[221:222], s[36:37], v[243:244]
	v_add_f64 v[152:153], v[8:9], v[152:153]
	v_mul_f64 v[8:9], v[192:193], s[44:45]
	v_add_f64 v[4:5], v[4:5], v[154:155]
	v_add_f64 v[10:11], v[158:159], v[10:11]
	v_mul_f64 v[158:159], v[213:214], s[44:45]
	v_fma_f64 v[154:155], v[190:191], s[10:11], v[8:9]
	v_fma_f64 v[8:9], v[190:191], s[10:11], -v[8:9]
	v_add_f64 v[154:155], v[154:155], v[172:173]
	v_add_f64 v[4:5], v[8:9], v[4:5]
	v_fma_f64 v[8:9], v[186:187], s[22:23], v[235:236]
	v_fma_f64 v[172:173], v[178:179], s[10:11], -v[158:159]
	v_fma_f64 v[158:159], v[178:179], s[10:11], v[158:159]
	v_add_f64 v[8:9], v[8:9], v[10:11]
	v_mul_f64 v[10:11], v[196:197], s[40:41]
	v_add_f64 v[156:157], v[172:173], v[156:157]
	v_mul_f64 v[196:197], v[196:197], s[50:51]
	v_add_f64 v[158:159], v[158:159], v[8:9]
	v_fma_f64 v[172:173], v[207:208], s[34:35], -v[10:11]
	v_fma_f64 v[10:11], v[207:208], s[34:35], v[10:11]
	v_add_f64 v[172:173], v[172:173], v[233:234]
	v_fma_f64 v[233:234], v[207:208], s[22:23], -v[196:197]
	v_fma_f64 v[196:197], v[207:208], s[22:23], v[196:197]
	v_mul_f64 v[207:208], v[194:195], s[40:41]
	v_mul_f64 v[194:195], v[194:195], s[50:51]
	v_add_f64 v[10:11], v[10:11], v[231:232]
	v_mul_f64 v[231:232], v[202:203], s[28:29]
	v_mul_f64 v[202:203], v[202:203], s[52:53]
	v_add_f64 v[146:147], v[196:197], v[146:147]
	v_fma_f64 v[235:236], v[204:205], s[34:35], v[207:208]
	v_fma_f64 v[207:208], v[204:205], s[34:35], -v[207:208]
	v_fma_f64 v[237:238], v[204:205], s[22:23], v[194:195]
	v_fma_f64 v[194:195], v[204:205], s[22:23], -v[194:195]
	v_add_f64 v[204:205], v[233:234], v[239:240]
	v_mul_f64 v[196:197], v[200:201], s[28:29]
	v_mul_f64 v[200:201], v[200:201], s[52:53]
	v_add_f64 v[233:234], v[235:236], v[251:252]
	v_fma_f64 v[235:236], v[211:212], s[24:25], -v[231:232]
	v_add_f64 v[207:208], v[207:208], v[245:246]
	v_fma_f64 v[231:232], v[211:212], s[24:25], v[231:232]
	v_add_f64 v[20:21], v[237:238], v[20:21]
	v_add_f64 v[22:23], v[194:195], v[22:23]
	v_fma_f64 v[237:238], v[209:210], s[26:27], v[200:201]
	v_fma_f64 v[200:201], v[209:210], s[26:27], -v[200:201]
	v_add_f64 v[172:173], v[235:236], v[172:173]
	v_fma_f64 v[235:236], v[211:212], s[26:27], -v[202:203]
	v_fma_f64 v[202:203], v[211:212], s[26:27], v[202:203]
	v_fma_f64 v[211:212], v[209:210], s[24:25], v[196:197]
	v_fma_f64 v[196:197], v[209:210], s[24:25], -v[196:197]
	v_add_f64 v[10:11], v[231:232], v[10:11]
	v_add_f64 v[22:23], v[200:201], v[22:23]
	v_mul_f64 v[200:201], v[198:199], s[54:55]
	v_mul_f64 v[198:199], v[198:199], s[38:39]
	v_add_f64 v[20:21], v[237:238], v[20:21]
	v_mul_f64 v[231:232], v[2:3], s[0:1]
	v_add_f64 v[194:195], v[235:236], v[204:205]
	v_add_f64 v[146:147], v[202:203], v[146:147]
	v_mul_f64 v[202:203], v[184:185], s[0:1]
	v_add_f64 v[196:197], v[196:197], v[207:208]
	v_mul_f64 v[207:208], v[182:183], s[0:1]
	v_mul_f64 v[182:183], v[182:183], s[40:41]
	v_add_f64 v[204:205], v[211:212], v[233:234]
	v_mul_f64 v[184:185], v[184:185], s[40:41]
	v_mul_f64 v[233:234], v[170:171], s[0:1]
	v_fma_f64 v[211:212], v[221:222], s[2:3], v[202:203]
	v_fma_f64 v[202:203], v[221:222], s[2:3], -v[202:203]
	v_fma_f64 v[209:210], v[223:224], s[2:3], -v[207:208]
	v_fma_f64 v[207:208], v[223:224], s[2:3], v[207:208]
	v_add_f64 v[204:205], v[211:212], v[204:205]
	v_mul_f64 v[211:212], v[219:220], s[38:39]
	v_add_f64 v[172:173], v[209:210], v[172:173]
	v_fma_f64 v[209:210], v[223:224], s[34:35], -v[182:183]
	v_fma_f64 v[182:183], v[223:224], s[34:35], v[182:183]
	v_fma_f64 v[223:224], v[221:222], s[34:35], v[184:185]
	v_mul_f64 v[219:220], v[219:220], s[54:55]
	v_add_f64 v[10:11], v[207:208], v[10:11]
	v_mul_f64 v[207:208], v[192:193], s[42:43]
	v_add_f64 v[196:197], v[202:203], v[196:197]
	v_fma_f64 v[202:203], v[180:181], s[36:37], -v[198:199]
	v_fma_f64 v[184:185], v[221:222], s[34:35], -v[184:185]
	v_mul_f64 v[192:193], v[192:193], s[28:29]
	v_mul_f64 v[221:222], v[170:171], s[18:19]
	v_add_f64 v[194:195], v[209:210], v[194:195]
	v_fma_f64 v[209:210], v[180:181], s[16:17], -v[200:201]
	v_add_f64 v[20:21], v[223:224], v[20:21]
	v_fma_f64 v[200:201], v[180:181], s[16:17], v[200:201]
	v_fma_f64 v[180:181], v[180:181], s[36:37], v[198:199]
	;; [unrolled: 1-line block ×3, first 2 shown]
	v_add_f64 v[146:147], v[182:183], v[146:147]
	v_mul_f64 v[182:183], v[213:214], s[42:43]
	v_mul_f64 v[213:214], v[213:214], s[28:29]
	v_fma_f64 v[219:220], v[186:187], s[16:17], -v[219:220]
	v_add_f64 v[22:23], v[184:185], v[22:23]
	v_mul_f64 v[184:185], v[188:189], s[40:41]
	v_fma_f64 v[237:238], v[168:169], s[16:17], v[221:222]
	v_add_f64 v[194:195], v[202:203], v[194:195]
	v_add_f64 v[172:173], v[209:210], v[172:173]
	v_fma_f64 v[209:210], v[186:187], s[36:37], v[211:212]
	v_fma_f64 v[186:187], v[186:187], s[36:37], -v[211:212]
	v_fma_f64 v[211:212], v[190:191], s[36:37], -v[207:208]
	v_mul_f64 v[202:203], v[188:189], s[30:31]
	v_add_f64 v[198:199], v[198:199], v[204:205]
	v_fma_f64 v[204:205], v[190:191], s[24:25], -v[192:193]
	v_add_f64 v[10:11], v[200:201], v[10:11]
	v_fma_f64 v[207:208], v[190:191], s[36:37], v[207:208]
	v_mul_f64 v[188:189], v[188:189], s[18:19]
	v_fma_f64 v[200:201], v[178:179], s[24:25], v[213:214]
	v_add_f64 v[196:197], v[219:220], v[196:197]
	v_fma_f64 v[219:220], v[178:179], s[36:37], v[182:183]
	v_add_f64 v[146:147], v[180:181], v[146:147]
	v_mul_f64 v[180:181], v[176:177], s[18:19]
	v_fma_f64 v[182:183], v[178:179], s[36:37], -v[182:183]
	v_fma_f64 v[190:191], v[190:191], s[24:25], v[192:193]
	v_mul_f64 v[192:193], v[176:177], s[40:41]
	v_fma_f64 v[178:179], v[178:179], s[24:25], -v[213:214]
	v_mul_f64 v[176:177], v[176:177], s[30:31]
	v_add_f64 v[20:21], v[209:210], v[20:21]
	v_mul_f64 v[209:210], v[2:3], s[28:29]
	v_add_f64 v[172:173], v[211:212], v[172:173]
	v_fma_f64 v[213:214], v[166:167], s[26:27], -v[202:203]
	v_add_f64 v[22:23], v[186:187], v[22:23]
	v_add_f64 v[194:195], v[204:205], v[194:195]
	v_fma_f64 v[211:212], v[166:167], s[34:35], -v[184:185]
	v_add_f64 v[10:11], v[207:208], v[10:11]
	v_fma_f64 v[207:208], v[166:167], s[16:17], -v[188:189]
	v_fma_f64 v[184:185], v[166:167], s[34:35], v[184:185]
	v_fma_f64 v[202:203], v[166:167], s[26:27], v[202:203]
	;; [unrolled: 1-line block ×3, first 2 shown]
	v_mul_f64 v[188:189], v[2:3], s[8:9]
	v_add_f64 v[198:199], v[219:220], v[198:199]
	v_add_f64 v[182:183], v[182:183], v[196:197]
	v_fma_f64 v[196:197], v[164:165], s[16:17], v[180:181]
	v_fma_f64 v[223:224], v[164:165], s[34:35], -v[192:193]
	v_fma_f64 v[192:193], v[164:165], s[34:35], v[192:193]
	v_mul_f64 v[219:220], v[2:3], s[18:19]
	v_mul_f64 v[204:205], v[170:171], s[28:29]
	v_add_f64 v[146:147], v[190:191], v[146:147]
	v_add_f64 v[20:21], v[200:201], v[20:21]
	v_fma_f64 v[186:187], v[0:1], s[24:25], v[209:210]
	v_fma_f64 v[209:210], v[0:1], s[24:25], -v[209:210]
	v_add_f64 v[172:173], v[213:214], v[172:173]
	v_fma_f64 v[213:214], v[164:165], s[26:27], v[176:177]
	v_fma_f64 v[176:177], v[164:165], s[26:27], -v[176:177]
	v_fma_f64 v[164:165], v[164:165], s[16:17], -v[180:181]
	v_mul_f64 v[180:181], v[170:171], s[8:9]
	v_mul_f64 v[200:201], v[2:3], s[20:21]
	;; [unrolled: 1-line block ×3, first 2 shown]
	v_add_f64 v[22:23], v[178:179], v[22:23]
	v_add_f64 v[178:179], v[207:208], v[194:195]
	v_fma_f64 v[239:240], v[0:1], s[10:11], -v[188:189]
	v_add_f64 v[194:195], v[184:185], v[154:155]
	v_fma_f64 v[154:155], v[168:169], s[2:3], v[233:234]
	v_add_f64 v[211:212], v[211:212], v[4:5]
	v_fma_f64 v[188:189], v[0:1], s[10:11], v[188:189]
	v_add_f64 v[158:159], v[192:193], v[158:159]
	v_fma_f64 v[235:236], v[0:1], s[16:17], -v[219:220]
	v_fma_f64 v[207:208], v[168:169], s[24:25], v[204:205]
	v_fma_f64 v[2:3], v[168:169], s[24:25], -v[204:205]
	v_add_f64 v[20:21], v[196:197], v[20:21]
	v_add_f64 v[196:197], v[223:224], v[156:157]
	;; [unrolled: 1-line block ×4, first 2 shown]
	v_fma_f64 v[152:153], v[0:1], s[2:3], -v[231:232]
	v_add_f64 v[213:214], v[213:214], v[198:199]
	v_add_f64 v[4:5], v[186:187], v[227:228]
	v_fma_f64 v[156:157], v[168:169], s[10:11], v[180:181]
	v_fma_f64 v[227:228], v[0:1], s[22:23], -v[200:201]
	v_fma_f64 v[209:210], v[168:169], s[22:23], v[170:171]
	v_add_f64 v[186:187], v[202:203], v[10:11]
	v_fma_f64 v[202:203], v[0:1], s[22:23], v[200:201]
	v_fma_f64 v[198:199], v[0:1], s[16:17], v[219:220]
	v_fma_f64 v[190:191], v[168:169], s[10:11], -v[180:181]
	v_add_f64 v[192:193], v[176:177], v[182:183]
	v_fma_f64 v[0:1], v[0:1], s[2:3], v[231:232]
	v_add_f64 v[180:181], v[166:167], v[146:147]
	v_add_f64 v[176:177], v[253:254], v[24:25]
	v_fma_f64 v[204:205], v[168:169], s[22:23], -v[170:171]
	v_add_f64 v[170:171], v[239:240], v[172:173]
	v_fma_f64 v[200:201], v[168:169], s[16:17], -v[221:222]
	v_fma_f64 v[182:183], v[168:169], s[2:3], -v[233:234]
	v_add_f64 v[172:173], v[154:155], v[20:21]
	v_add_f64 v[184:185], v[164:165], v[22:23]
	;; [unrolled: 1-line block ×10, first 2 shown]
	v_mul_lo_u16 v10, v206, 17
	v_mov_b32_e32 v11, 4
	v_add_f64 v[188:189], v[188:189], v[186:187]
	s_clause 0x1
	buffer_load_dword v228, off, s[60:63], 0 offset:224
	buffer_load_dword v227, off, s[60:63], 0 offset:216
	v_add_f64 v[186:187], v[190:191], v[192:193]
	v_add_f64 v[2:3], v[2:3], v[28:29]
	;; [unrolled: 1-line block ×3, first 2 shown]
	v_lshlrev_b32_sdwa v0, v11, v10 dst_sel:DWORD dst_unused:UNUSED_PAD src0_sel:DWORD src1_sel:WORD_0
	ds_write_b128 v0, v[176:179]
	ds_write_b128 v0, v[172:175] offset:16
	ds_write_b128 v0, v[168:171] offset:32
	;; [unrolled: 1-line block ×7, first 2 shown]
	s_clause 0x3
	buffer_load_dword v6, off, s[60:63], 0 offset:248
	buffer_load_dword v7, off, s[60:63], 0 offset:252
	;; [unrolled: 1-line block ×4, first 2 shown]
	v_add_f64 v[209:210], v[202:203], v[215:216]
	v_add_f64 v[207:208], v[204:205], v[217:218]
	;; [unrolled: 1-line block ×5, first 2 shown]
	s_waitcnt vmcnt(0)
	ds_write_b128 v0, v[6:9] offset:128
	s_clause 0x3
	buffer_load_dword v6, off, s[60:63], 0 offset:232
	buffer_load_dword v7, off, s[60:63], 0 offset:236
	;; [unrolled: 1-line block ×4, first 2 shown]
	s_waitcnt vmcnt(0)
	ds_write_b128 v0, v[6:9] offset:144
	ds_write_b128 v0, v[160:163] offset:160
	;; [unrolled: 1-line block ×8, first 2 shown]
.LBB0_13:
	s_or_b32 exec_lo, exec_lo, s33
	s_waitcnt lgkmcnt(0)
	s_waitcnt_vscnt null, 0x0
	s_barrier
	buffer_gl0_inv
	ds_read_b128 v[0:3], v230 offset:9792
	ds_read_b128 v[4:7], v230 offset:19584
	;; [unrolled: 1-line block ×8, first 2 shown]
	s_clause 0xf
	buffer_load_dword v24, off, s[60:63], 0 offset:88
	buffer_load_dword v25, off, s[60:63], 0 offset:92
	;; [unrolled: 1-line block ×16, first 2 shown]
	s_mov_b32 s0, 0xe8584caa
	s_mov_b32 s1, 0xbfebb67a
	;; [unrolled: 1-line block ×4, first 2 shown]
	s_waitcnt lgkmcnt(7)
	v_mul_f64 v[20:21], v[38:39], v[2:3]
	v_mul_f64 v[22:23], v[38:39], v[0:1]
	s_waitcnt lgkmcnt(5)
	v_mul_f64 v[156:157], v[42:43], v[10:11]
	v_mul_f64 v[42:43], v[42:43], v[8:9]
	s_waitcnt lgkmcnt(1)
	v_mul_f64 v[166:167], v[50:51], v[150:151]
	s_waitcnt lgkmcnt(0)
	v_mul_f64 v[168:169], v[46:47], v[154:155]
	v_mul_f64 v[50:51], v[50:51], v[148:149]
	;; [unrolled: 1-line block ×3, first 2 shown]
	v_fma_f64 v[20:21], v[36:37], v[0:1], v[20:21]
	v_fma_f64 v[22:23], v[36:37], v[2:3], -v[22:23]
	ds_read_b128 v[0:3], v230
	s_waitcnt vmcnt(12)
	v_mul_f64 v[38:39], v[26:27], v[6:7]
	v_mul_f64 v[26:27], v[26:27], v[4:5]
	s_waitcnt vmcnt(4)
	v_mul_f64 v[160:161], v[34:35], v[18:19]
	v_mul_f64 v[34:35], v[34:35], v[16:17]
	;; [unrolled: 1-line block ×4, first 2 shown]
	s_waitcnt vmcnt(0)
	v_mul_f64 v[162:163], v[172:173], v[146:147]
	v_mul_f64 v[164:165], v[172:173], v[144:145]
	v_fma_f64 v[36:37], v[24:25], v[4:5], v[38:39]
	v_fma_f64 v[38:39], v[40:41], v[10:11], -v[42:43]
	v_fma_f64 v[42:43], v[44:45], v[152:153], v[168:169]
	v_fma_f64 v[18:19], v[32:33], v[18:19], -v[34:35]
	;; [unrolled: 2-line block ×3, first 2 shown]
	v_fma_f64 v[26:27], v[40:41], v[8:9], v[156:157]
	v_fma_f64 v[40:41], v[28:29], v[12:13], v[158:159]
	v_fma_f64 v[48:49], v[48:49], v[150:151], -v[50:51]
	v_fma_f64 v[44:45], v[44:45], v[154:155], -v[46:47]
	v_fma_f64 v[28:29], v[28:29], v[14:15], -v[30:31]
	ds_read_b128 v[4:7], v230 offset:2448
	ds_read_b128 v[8:11], v230 offset:4896
	;; [unrolled: 1-line block ×3, first 2 shown]
	v_fma_f64 v[16:17], v[32:33], v[16:17], v[160:161]
	v_fma_f64 v[30:31], v[170:171], v[144:145], v[162:163]
	v_fma_f64 v[32:33], v[170:171], v[146:147], -v[164:165]
	s_waitcnt lgkmcnt(3)
	v_add_f64 v[150:151], v[0:1], v[20:21]
	s_waitcnt lgkmcnt(0)
	s_barrier
	buffer_gl0_inv
	v_add_f64 v[46:47], v[20:21], v[36:37]
	v_add_f64 v[160:161], v[20:21], -v[36:37]
	v_add_f64 v[156:157], v[34:35], v[42:43]
	v_add_f64 v[50:51], v[22:23], v[24:25]
	v_add_f64 v[154:155], v[22:23], -v[24:25]
	v_add_f64 v[144:145], v[26:27], v[40:41]
	v_add_f64 v[20:21], v[4:5], v[26:27]
	;; [unrolled: 1-line block ×4, first 2 shown]
	v_add_f64 v[48:49], v[48:49], -v[44:45]
	v_add_f64 v[172:173], v[26:27], -v[40:41]
	v_add_f64 v[22:23], v[2:3], v[22:23]
	v_add_f64 v[148:149], v[16:17], v[30:31]
	;; [unrolled: 1-line block ×5, first 2 shown]
	v_add_f64 v[174:175], v[16:17], -v[30:31]
	v_add_f64 v[146:147], v[38:39], v[28:29]
	v_add_f64 v[162:163], v[6:7], v[38:39]
	v_add_f64 v[38:39], v[38:39], -v[28:29]
	v_fma_f64 v[46:47], v[46:47], -0.5, v[0:1]
	v_add_f64 v[0:1], v[150:151], v[36:37]
	v_add_f64 v[168:169], v[12:13], v[34:35]
	v_add_f64 v[176:177], v[34:35], -v[42:43]
	v_fma_f64 v[156:157], v[156:157], -0.5, v[12:13]
	v_fma_f64 v[50:51], v[50:51], -0.5, v[2:3]
	;; [unrolled: 1-line block ×3, first 2 shown]
	v_add_f64 v[4:5], v[20:21], v[40:41]
	v_fma_f64 v[150:151], v[158:159], -0.5, v[14:15]
	v_add_f64 v[14:15], v[170:171], v[44:45]
	v_add_f64 v[144:145], v[18:19], -v[32:33]
	v_add_f64 v[2:3], v[22:23], v[24:25]
	v_fma_f64 v[148:149], v[148:149], -0.5, v[8:9]
	v_fma_f64 v[152:153], v[152:153], -0.5, v[10:11]
	v_add_f64 v[8:9], v[164:165], v[30:31]
	v_add_f64 v[10:11], v[166:167], v[32:33]
	v_fma_f64 v[146:147], v[146:147], -0.5, v[6:7]
	v_add_f64 v[6:7], v[162:163], v[28:29]
	v_fma_f64 v[16:17], v[154:155], s[0:1], v[46:47]
	v_fma_f64 v[20:21], v[154:155], s[2:3], v[46:47]
	v_add_f64 v[12:13], v[168:169], v[42:43]
	v_fma_f64 v[40:41], v[48:49], s[0:1], v[156:157]
	v_fma_f64 v[44:45], v[48:49], s[2:3], v[156:157]
	buffer_load_dword v48, off, s[60:63], 0 offset:176 ; 4-byte Folded Reload
	v_fma_f64 v[18:19], v[160:161], s[2:3], v[50:51]
	v_fma_f64 v[22:23], v[160:161], s[0:1], v[50:51]
	;; [unrolled: 1-line block ×6, first 2 shown]
	s_waitcnt vmcnt(0)
	ds_write_b128 v48, v[0:3]
	ds_write_b128 v48, v[16:19] offset:272
	ds_write_b128 v48, v[20:23] offset:544
	buffer_load_dword v0, off, s[60:63], 0 offset:168 ; 4-byte Folded Reload
	v_fma_f64 v[26:27], v[172:173], s[2:3], v[146:147]
	v_fma_f64 v[30:31], v[172:173], s[0:1], v[146:147]
	;; [unrolled: 1-line block ×6, first 2 shown]
	s_waitcnt vmcnt(0)
	ds_write_b128 v0, v[4:7]
	ds_write_b128 v0, v[24:27] offset:272
	ds_write_b128 v0, v[28:31] offset:544
	buffer_load_dword v0, off, s[60:63], 0 offset:160 ; 4-byte Folded Reload
	s_waitcnt vmcnt(0)
	ds_write_b128 v0, v[8:11]
	ds_write_b128 v0, v[32:35] offset:272
	ds_write_b128 v0, v[36:39] offset:544
	buffer_load_dword v0, off, s[60:63], 0 offset:152 ; 4-byte Folded Reload
	s_waitcnt vmcnt(0)
	ds_write_b128 v0, v[12:15]
	ds_write_b128 v0, v[40:43] offset:272
	ds_write_b128 v0, v[44:47] offset:544
	s_waitcnt lgkmcnt(0)
	s_barrier
	buffer_gl0_inv
	ds_read_b128 v[0:3], v230 offset:9792
	ds_read_b128 v[4:7], v230 offset:19584
	;; [unrolled: 1-line block ×8, first 2 shown]
	s_waitcnt lgkmcnt(7)
	v_mul_f64 v[32:33], v[70:71], v[2:3]
	s_waitcnt lgkmcnt(6)
	v_mul_f64 v[36:37], v[58:59], v[6:7]
	v_mul_f64 v[34:35], v[70:71], v[0:1]
	v_mul_f64 v[38:39], v[58:59], v[4:5]
	s_waitcnt lgkmcnt(4)
	v_mul_f64 v[44:45], v[54:55], v[14:15]
	v_mul_f64 v[46:47], v[54:55], v[12:13]
	s_waitcnt lgkmcnt(3)
	v_mul_f64 v[48:49], v[74:75], v[18:19]
	s_waitcnt lgkmcnt(2)
	v_mul_f64 v[54:55], v[66:67], v[22:23]
	v_mul_f64 v[40:41], v[62:63], v[10:11]
	;; [unrolled: 1-line block ×5, first 2 shown]
	s_waitcnt lgkmcnt(1)
	v_mul_f64 v[62:63], v[82:83], v[26:27]
	v_mul_f64 v[70:71], v[82:83], v[24:25]
	s_waitcnt lgkmcnt(0)
	v_mul_f64 v[74:75], v[78:79], v[28:29]
	v_mul_f64 v[66:67], v[78:79], v[30:31]
	v_fma_f64 v[32:33], v[68:69], v[0:1], v[32:33]
	v_fma_f64 v[36:37], v[56:57], v[4:5], v[36:37]
	v_fma_f64 v[34:35], v[68:69], v[2:3], -v[34:35]
	v_fma_f64 v[38:39], v[56:57], v[6:7], -v[38:39]
	ds_read_b128 v[0:3], v230
	v_fma_f64 v[44:45], v[52:53], v[12:13], v[44:45]
	v_fma_f64 v[16:17], v[72:73], v[16:17], v[48:49]
	;; [unrolled: 1-line block ×4, first 2 shown]
	v_fma_f64 v[42:43], v[60:61], v[10:11], -v[42:43]
	v_fma_f64 v[46:47], v[52:53], v[14:15], -v[46:47]
	ds_read_b128 v[4:7], v230 offset:2448
	ds_read_b128 v[8:11], v230 offset:4896
	;; [unrolled: 1-line block ×3, first 2 shown]
	v_fma_f64 v[18:19], v[72:73], v[18:19], -v[50:51]
	v_fma_f64 v[24:25], v[80:81], v[24:25], v[62:63]
	s_waitcnt lgkmcnt(0)
	s_barrier
	buffer_gl0_inv
	v_fma_f64 v[22:23], v[64:65], v[22:23], -v[58:59]
	v_fma_f64 v[30:31], v[76:77], v[30:31], -v[74:75]
	v_fma_f64 v[26:27], v[80:81], v[26:27], -v[70:71]
	v_fma_f64 v[28:29], v[76:77], v[28:29], v[66:67]
	v_add_f64 v[48:49], v[32:33], v[36:37]
	v_add_f64 v[58:59], v[0:1], v[32:33]
	v_add_f64 v[62:63], v[34:35], -v[38:39]
	v_add_f64 v[50:51], v[34:35], v[38:39]
	v_add_f64 v[34:35], v[2:3], v[34:35]
	v_add_f64 v[32:33], v[32:33], -v[36:37]
	;; [unrolled: 3-line block ×3, first 2 shown]
	v_add_f64 v[52:53], v[40:41], v[44:45]
	v_add_f64 v[54:55], v[42:43], v[46:47]
	;; [unrolled: 1-line block ×5, first 2 shown]
	v_add_f64 v[42:43], v[42:43], -v[46:47]
	v_add_f64 v[40:41], v[40:41], -v[44:45]
	v_add_f64 v[60:61], v[18:19], v[22:23]
	v_add_f64 v[80:81], v[18:19], -v[22:23]
	v_add_f64 v[66:67], v[26:27], v[30:31]
	v_add_f64 v[64:65], v[24:25], v[28:29]
	v_add_f64 v[76:77], v[12:13], v[24:25]
	v_add_f64 v[78:79], v[14:15], v[26:27]
	v_fma_f64 v[48:49], v[48:49], -0.5, v[0:1]
	v_add_f64 v[0:1], v[58:59], v[36:37]
	v_add_f64 v[144:145], v[26:27], -v[30:31]
	v_fma_f64 v[50:51], v[50:51], -0.5, v[2:3]
	v_add_f64 v[2:3], v[34:35], v[38:39]
	v_add_f64 v[146:147], v[24:25], -v[28:29]
	v_fma_f64 v[56:57], v[56:57], -0.5, v[8:9]
	v_add_f64 v[8:9], v[72:73], v[20:21]
	v_fma_f64 v[52:53], v[52:53], -0.5, v[4:5]
	v_fma_f64 v[54:55], v[54:55], -0.5, v[6:7]
	v_add_f64 v[4:5], v[68:69], v[44:45]
	v_add_f64 v[6:7], v[70:71], v[46:47]
	v_fma_f64 v[60:61], v[60:61], -0.5, v[10:11]
	v_add_f64 v[10:11], v[74:75], v[22:23]
	v_fma_f64 v[58:59], v[66:67], -0.5, v[14:15]
	v_fma_f64 v[64:65], v[64:65], -0.5, v[12:13]
	v_add_f64 v[12:13], v[76:77], v[28:29]
	v_add_f64 v[14:15], v[78:79], v[30:31]
	v_fma_f64 v[16:17], v[62:63], s[0:1], v[48:49]
	v_fma_f64 v[20:21], v[62:63], s[2:3], v[48:49]
	buffer_load_dword v48, off, s[60:63], 0 offset:208 ; 4-byte Folded Reload
	v_fma_f64 v[18:19], v[32:33], s[2:3], v[50:51]
	v_fma_f64 v[22:23], v[32:33], s[0:1], v[50:51]
	s_waitcnt vmcnt(0)
	ds_write_b128 v48, v[0:3]
	ds_write_b128 v48, v[16:19] offset:816
	ds_write_b128 v48, v[20:23] offset:1632
	buffer_load_dword v0, off, s[60:63], 0 offset:200 ; 4-byte Folded Reload
	v_fma_f64 v[24:25], v[42:43], s[0:1], v[52:53]
	v_fma_f64 v[26:27], v[40:41], s[2:3], v[54:55]
	v_fma_f64 v[28:29], v[42:43], s[2:3], v[52:53]
	v_fma_f64 v[30:31], v[40:41], s[0:1], v[54:55]
	v_fma_f64 v[32:33], v[80:81], s[0:1], v[56:57]
	v_fma_f64 v[34:35], v[82:83], s[2:3], v[60:61]
	v_fma_f64 v[36:37], v[80:81], s[2:3], v[56:57]
	v_fma_f64 v[38:39], v[82:83], s[0:1], v[60:61]
	v_fma_f64 v[40:41], v[144:145], s[0:1], v[64:65]
	v_fma_f64 v[42:43], v[146:147], s[2:3], v[58:59]
	v_fma_f64 v[44:45], v[144:145], s[2:3], v[64:65]
	v_fma_f64 v[46:47], v[146:147], s[0:1], v[58:59]
	s_waitcnt vmcnt(0)
	ds_write_b128 v0, v[4:7]
	ds_write_b128 v0, v[24:27] offset:816
	ds_write_b128 v0, v[28:31] offset:1632
	buffer_load_dword v0, off, s[60:63], 0 offset:192 ; 4-byte Folded Reload
	s_waitcnt vmcnt(0)
	ds_write_b128 v0, v[8:11]
	ds_write_b128 v0, v[32:35] offset:816
	ds_write_b128 v0, v[36:39] offset:1632
	buffer_load_dword v0, off, s[60:63], 0 offset:184 ; 4-byte Folded Reload
	s_waitcnt vmcnt(0)
	ds_write_b128 v0, v[12:15]
	ds_write_b128 v0, v[40:43] offset:816
	ds_write_b128 v0, v[44:47] offset:1632
	s_waitcnt lgkmcnt(0)
	s_barrier
	buffer_gl0_inv
	ds_read_b128 v[0:3], v230 offset:14688
	ds_read_b128 v[4:7], v230 offset:17136
	;; [unrolled: 1-line block ×6, first 2 shown]
	ds_read_b128 v[24:27], v230
	ds_read_b128 v[28:31], v230 offset:2448
	ds_read_b128 v[32:35], v230 offset:4896
	;; [unrolled: 1-line block ×3, first 2 shown]
	s_waitcnt lgkmcnt(9)
	v_mul_f64 v[40:41], v[98:99], v[2:3]
	v_mul_f64 v[42:43], v[98:99], v[0:1]
	s_waitcnt lgkmcnt(8)
	v_mul_f64 v[44:45], v[98:99], v[6:7]
	v_mul_f64 v[46:47], v[98:99], v[4:5]
	;; [unrolled: 3-line block ×6, first 2 shown]
	v_fma_f64 v[40:41], v[96:97], v[0:1], v[40:41]
	v_fma_f64 v[42:43], v[96:97], v[2:3], -v[42:43]
	v_fma_f64 v[44:45], v[96:97], v[4:5], v[44:45]
	v_fma_f64 v[46:47], v[96:97], v[6:7], -v[46:47]
	;; [unrolled: 2-line block ×4, first 2 shown]
	ds_read_b128 v[0:3], v230 offset:9792
	ds_read_b128 v[4:7], v230 offset:12240
	s_waitcnt lgkmcnt(0)
	s_barrier
	buffer_gl0_inv
	v_fma_f64 v[56:57], v[88:89], v[16:17], v[56:57]
	v_fma_f64 v[58:59], v[88:89], v[18:19], -v[58:59]
	v_fma_f64 v[60:61], v[92:93], v[20:21], v[60:61]
	v_fma_f64 v[62:63], v[92:93], v[22:23], -v[62:63]
	v_add_f64 v[8:9], v[24:25], -v[40:41]
	v_add_f64 v[10:11], v[26:27], -v[42:43]
	;; [unrolled: 1-line block ×12, first 2 shown]
	v_fma_f64 v[24:25], v[24:25], 2.0, -v[8:9]
	v_fma_f64 v[26:27], v[26:27], 2.0, -v[10:11]
	;; [unrolled: 1-line block ×4, first 2 shown]
	ds_write_b128 v230, v[8:11] offset:2448
	ds_write_b128 v230, v[12:15] offset:7344
	ds_write_b128 v230, v[24:27]
	ds_write_b128 v230, v[28:31] offset:4896
	buffer_load_dword v8, off, s[60:63], 0 offset:144 ; 4-byte Folded Reload
	v_fma_f64 v[32:33], v[32:33], 2.0, -v[16:17]
	v_fma_f64 v[34:35], v[34:35], 2.0, -v[18:19]
	;; [unrolled: 1-line block ×8, first 2 shown]
	s_waitcnt vmcnt(0)
	ds_write_b128 v8, v[32:35] offset:9792
	ds_write_b128 v8, v[16:19] offset:12240
	buffer_load_dword v8, off, s[60:63], 0 offset:136 ; 4-byte Folded Reload
	s_waitcnt vmcnt(0)
	ds_write_b128 v8, v[36:39] offset:14688
	ds_write_b128 v8, v[20:23] offset:17136
	ds_write_b128 v228, v[0:3] offset:19584
	ds_write_b128 v228, v[40:43] offset:22032
	ds_write_b128 v227, v[4:7] offset:24480
	ds_write_b128 v227, v[44:47] offset:26928
	s_waitcnt lgkmcnt(0)
	s_barrier
	buffer_gl0_inv
	ds_read_b128 v[0:3], v230 offset:14688
	ds_read_b128 v[4:7], v230 offset:24480
	;; [unrolled: 1-line block ×8, first 2 shown]
	s_waitcnt lgkmcnt(7)
	v_mul_f64 v[32:33], v[110:111], v[0:1]
	s_waitcnt lgkmcnt(6)
	v_mul_f64 v[34:35], v[138:139], v[4:5]
	;; [unrolled: 2-line block ×5, first 2 shown]
	v_mul_f64 v[46:47], v[110:111], v[2:3]
	v_mul_f64 v[48:49], v[138:139], v[6:7]
	;; [unrolled: 1-line block ×3, first 2 shown]
	s_waitcnt lgkmcnt(0)
	v_mul_f64 v[56:57], v[126:127], v[30:31]
	v_mul_f64 v[58:59], v[126:127], v[28:29]
	v_mul_f64 v[60:61], v[122:123], v[18:19]
	v_mul_f64 v[62:63], v[106:107], v[22:23]
	v_fma_f64 v[50:51], v[108:109], v[2:3], -v[32:33]
	v_fma_f64 v[52:53], v[136:137], v[6:7], -v[34:35]
	v_mul_f64 v[2:3], v[106:107], v[20:21]
	v_mul_f64 v[6:7], v[134:135], v[10:11]
	v_fma_f64 v[10:11], v[132:133], v[10:11], -v[40:41]
	v_fma_f64 v[14:15], v[140:141], v[14:15], -v[42:43]
	ds_read_b128 v[32:35], v230 offset:12240
	ds_read_b128 v[36:39], v230 offset:22032
	v_mul_f64 v[40:41], v[130:131], v[26:27]
	v_mul_f64 v[42:43], v[130:131], v[24:25]
	v_fma_f64 v[46:47], v[108:109], v[0:1], v[46:47]
	v_fma_f64 v[48:49], v[136:137], v[4:5], v[48:49]
	v_fma_f64 v[18:19], v[120:121], v[18:19], -v[44:45]
	v_fma_f64 v[12:13], v[140:141], v[12:13], v[54:55]
	v_fma_f64 v[28:29], v[124:125], v[28:29], v[56:57]
	v_fma_f64 v[30:31], v[124:125], v[30:31], -v[58:59]
	v_fma_f64 v[16:17], v[120:121], v[16:17], v[60:61]
	v_fma_f64 v[20:21], v[104:105], v[20:21], v[62:63]
	v_add_f64 v[4:5], v[50:51], v[52:53]
	v_fma_f64 v[22:23], v[104:105], v[22:23], -v[2:3]
	s_waitcnt lgkmcnt(1)
	v_mul_f64 v[44:45], v[118:119], v[34:35]
	v_mul_f64 v[64:65], v[118:119], v[32:33]
	s_waitcnt lgkmcnt(0)
	v_mul_f64 v[66:67], v[114:115], v[38:39]
	v_mul_f64 v[68:69], v[114:115], v[36:37]
	v_fma_f64 v[8:9], v[132:133], v[8:9], v[6:7]
	v_add_f64 v[6:7], v[10:11], v[14:15]
	v_fma_f64 v[24:25], v[128:129], v[24:25], v[40:41]
	v_fma_f64 v[26:27], v[128:129], v[26:27], -v[42:43]
	v_add_f64 v[40:41], v[46:47], v[48:49]
	v_add_f64 v[42:43], v[46:47], -v[48:49]
	ds_read_b128 v[0:3], v230
	v_add_f64 v[72:73], v[10:11], -v[14:15]
	v_fma_f64 v[54:55], v[4:5], -0.5, v[18:19]
	v_add_f64 v[18:19], v[18:19], v[50:51]
	v_fma_f64 v[32:33], v[116:117], v[32:33], v[44:45]
	v_fma_f64 v[34:35], v[116:117], v[34:35], -v[64:65]
	v_fma_f64 v[36:37], v[112:113], v[36:37], v[66:67]
	v_fma_f64 v[38:39], v[112:113], v[38:39], -v[68:69]
	v_add_f64 v[44:45], v[8:9], v[12:13]
	v_add_f64 v[56:57], v[8:9], -v[12:13]
	v_fma_f64 v[58:59], v[6:7], -0.5, v[22:23]
	ds_read_b128 v[4:7], v230 offset:2448
	s_waitcnt lgkmcnt(1)
	v_add_f64 v[60:61], v[0:1], v[24:25]
	v_add_f64 v[62:63], v[24:25], v[28:29]
	v_add_f64 v[64:65], v[26:27], -v[30:31]
	v_add_f64 v[66:67], v[2:3], v[26:27]
	v_add_f64 v[26:27], v[26:27], v[30:31]
	v_add_f64 v[68:69], v[50:51], -v[52:53]
	v_fma_f64 v[40:41], v[40:41], -0.5, v[16:17]
	v_add_f64 v[16:17], v[16:17], v[46:47]
	v_add_f64 v[8:9], v[20:21], v[8:9]
	;; [unrolled: 1-line block ×3, first 2 shown]
	v_add_f64 v[24:25], v[24:25], -v[28:29]
	v_fma_f64 v[70:71], v[42:43], s[2:3], v[54:55]
	v_fma_f64 v[42:43], v[42:43], s[0:1], v[54:55]
	v_add_f64 v[18:19], v[18:19], v[52:53]
	v_add_f64 v[46:47], v[32:33], v[36:37]
	v_add_f64 v[54:55], v[34:35], v[38:39]
	v_fma_f64 v[44:45], v[44:45], -0.5, v[20:21]
	v_add_f64 v[74:75], v[34:35], -v[38:39]
	v_fma_f64 v[50:51], v[56:57], s[2:3], v[58:59]
	v_fma_f64 v[56:57], v[56:57], s[0:1], v[58:59]
	s_waitcnt lgkmcnt(0)
	v_add_f64 v[58:59], v[4:5], v[32:33]
	v_add_f64 v[34:35], v[6:7], v[34:35]
	;; [unrolled: 1-line block ×3, first 2 shown]
	v_fma_f64 v[0:1], v[62:63], -0.5, v[0:1]
	v_add_f64 v[22:23], v[66:67], v[30:31]
	v_fma_f64 v[2:3], v[26:27], -0.5, v[2:3]
	v_fma_f64 v[26:27], v[68:69], s[0:1], v[40:41]
	v_fma_f64 v[28:29], v[68:69], s[2:3], v[40:41]
	v_add_f64 v[32:33], v[32:33], -v[36:37]
	v_add_f64 v[16:17], v[16:17], v[48:49]
	v_add_f64 v[12:13], v[8:9], v[12:13]
	;; [unrolled: 1-line block ×3, first 2 shown]
	v_mul_f64 v[30:31], v[70:71], s[0:1]
	v_mul_f64 v[60:61], v[70:71], 0.5
	v_mul_f64 v[40:41], v[42:43], s[0:1]
	v_mul_f64 v[42:43], v[42:43], -0.5
	v_fma_f64 v[4:5], v[46:47], -0.5, v[4:5]
	v_fma_f64 v[6:7], v[54:55], -0.5, v[6:7]
	v_fma_f64 v[46:47], v[72:73], s[0:1], v[44:45]
	v_fma_f64 v[44:45], v[72:73], s[2:3], v[44:45]
	v_mul_f64 v[54:55], v[50:51], s[0:1]
	v_mul_f64 v[50:51], v[50:51], 0.5
	v_mul_f64 v[62:63], v[56:57], s[0:1]
	v_mul_f64 v[56:57], v[56:57], -0.5
	v_add_f64 v[36:37], v[58:59], v[36:37]
	v_add_f64 v[34:35], v[34:35], v[38:39]
	v_fma_f64 v[38:39], v[64:65], s[0:1], v[0:1]
	v_fma_f64 v[52:53], v[24:25], s[2:3], v[2:3]
	;; [unrolled: 1-line block ×4, first 2 shown]
	v_add_f64 v[2:3], v[22:23], v[18:19]
	v_add_f64 v[0:1], v[20:21], v[16:17]
	v_fma_f64 v[24:25], v[26:27], 0.5, v[30:31]
	v_fma_f64 v[26:27], v[26:27], s[2:3], v[60:61]
	v_fma_f64 v[30:31], v[28:29], -0.5, v[40:41]
	v_fma_f64 v[40:41], v[28:29], s[2:3], v[42:43]
	v_fma_f64 v[42:43], v[74:75], s[0:1], v[4:5]
	;; [unrolled: 1-line block ×5, first 2 shown]
	v_fma_f64 v[54:55], v[46:47], 0.5, v[54:55]
	v_fma_f64 v[46:47], v[46:47], s[2:3], v[50:51]
	v_fma_f64 v[62:63], v[44:45], -0.5, v[62:63]
	v_fma_f64 v[50:51], v[44:45], s[2:3], v[56:57]
	v_add_f64 v[4:5], v[20:21], -v[16:17]
	v_add_f64 v[6:7], v[22:23], -v[18:19]
	v_add_f64 v[8:9], v[36:37], v[12:13]
	v_add_f64 v[10:11], v[34:35], v[14:15]
	v_add_f64 v[12:13], v[36:37], -v[12:13]
	v_add_f64 v[14:15], v[34:35], -v[14:15]
	v_add_f64 v[16:17], v[38:39], v[24:25]
	v_add_f64 v[18:19], v[52:53], v[26:27]
	;; [unrolled: 1-line block ×4, first 2 shown]
	v_add_f64 v[24:25], v[38:39], -v[24:25]
	v_add_f64 v[26:27], v[52:53], -v[26:27]
	;; [unrolled: 1-line block ×4, first 2 shown]
	v_add_f64 v[32:33], v[42:43], v[54:55]
	v_add_f64 v[34:35], v[64:65], v[46:47]
	v_add_f64 v[36:37], v[60:61], v[62:63]
	v_add_f64 v[38:39], v[66:67], v[50:51]
	v_add_f64 v[40:41], v[42:43], -v[54:55]
	v_add_f64 v[42:43], v[64:65], -v[46:47]
	;; [unrolled: 1-line block ×4, first 2 shown]
	ds_write_b128 v230, v[0:3]
	ds_write_b128 v230, v[4:7] offset:14688
	ds_write_b128 v230, v[8:11] offset:2448
	;; [unrolled: 1-line block ×11, first 2 shown]
	s_waitcnt lgkmcnt(0)
	s_barrier
	buffer_gl0_inv
	s_and_b32 exec_lo, exec_lo, vcc_lo
	s_cbranch_execz .LBB0_15
; %bb.14:
	global_load_dwordx4 v[0:3], v255, s[12:13]
	ds_read_b128 v[4:7], v230
	ds_read_b128 v[8:11], v229 offset:1728
	s_clause 0x1
	buffer_load_dword v14, off, s[60:63], 0
	buffer_load_dword v15, off, s[60:63], 0 offset:4
	s_mov_b32 s0, 0x672e4abd
	s_mov_b32 s1, 0x3f41d8f5
	s_mul_i32 s3, s4, 0x6c0
	s_waitcnt vmcnt(2) lgkmcnt(1)
	v_mul_f64 v[12:13], v[6:7], v[2:3]
	v_mul_f64 v[2:3], v[4:5], v[2:3]
	s_waitcnt vmcnt(1)
	v_mov_b32_e32 v16, v14
	s_waitcnt vmcnt(0)
	v_mad_u64_u32 v[14:15], null, s6, v16, 0
	v_fma_f64 v[4:5], v[4:5], v[0:1], v[12:13]
	v_fma_f64 v[2:3], v[0:1], v[6:7], -v[2:3]
	v_mad_u64_u32 v[6:7], null, s4, v206, 0
	v_mov_b32_e32 v0, v15
	v_mov_b32_e32 v1, v7
	v_mad_u64_u32 v[12:13], null, s7, v16, v[0:1]
	v_mov_b32_e32 v15, v12
	v_mad_u64_u32 v[16:17], null, s5, v206, v[1:2]
	v_mul_f64 v[0:1], v[4:5], s[0:1]
	v_mul_f64 v[2:3], v[2:3], s[0:1]
	v_lshlrev_b64 v[4:5], 4, v[14:15]
	v_mov_b32_e32 v7, v16
	v_add_co_u32 v4, vcc_lo, s14, v4
	v_add_co_ci_u32_e32 v5, vcc_lo, s15, v5, vcc_lo
	v_lshlrev_b64 v[6:7], 4, v[6:7]
	v_add_co_u32 v6, vcc_lo, v4, v6
	v_add_co_ci_u32_e32 v7, vcc_lo, v5, v7, vcc_lo
	v_add_co_u32 v14, vcc_lo, v6, s3
	global_store_dwordx4 v[6:7], v[0:3], off
	global_load_dwordx4 v[0:3], v255, s[12:13] offset:1728
	s_waitcnt vmcnt(0) lgkmcnt(0)
	v_mul_f64 v[4:5], v[10:11], v[2:3]
	v_mul_f64 v[2:3], v[8:9], v[2:3]
	v_fma_f64 v[4:5], v[8:9], v[0:1], v[4:5]
	v_fma_f64 v[0:1], v[0:1], v[10:11], -v[2:3]
	v_mul_f64 v[2:3], v[4:5], s[0:1]
	v_mul_f64 v[4:5], v[0:1], s[0:1]
	v_add_co_u32 v0, s2, s12, v255
	v_add_co_ci_u32_e64 v1, null, s13, 0, s2
	s_mul_i32 s2, s5, 0x6c0
	s_mul_hi_u32 s5, s4, 0x6c0
	s_add_i32 s2, s5, s2
	v_add_co_ci_u32_e32 v15, vcc_lo, s2, v7, vcc_lo
	v_add_co_u32 v6, vcc_lo, 0x800, v0
	v_add_co_ci_u32_e32 v7, vcc_lo, 0, v1, vcc_lo
	global_store_dwordx4 v[14:15], v[2:5], off
	global_load_dwordx4 v[2:5], v[6:7], off offset:1408
	ds_read_b128 v[6:9], v229 offset:3456
	ds_read_b128 v[10:13], v229 offset:5184
	s_waitcnt vmcnt(0) lgkmcnt(1)
	v_mul_f64 v[16:17], v[8:9], v[4:5]
	v_mul_f64 v[4:5], v[6:7], v[4:5]
	v_fma_f64 v[6:7], v[6:7], v[2:3], v[16:17]
	v_fma_f64 v[4:5], v[2:3], v[8:9], -v[4:5]
	v_mul_f64 v[2:3], v[6:7], s[0:1]
	v_mul_f64 v[4:5], v[4:5], s[0:1]
	v_add_co_u32 v6, vcc_lo, v14, s3
	v_add_co_ci_u32_e32 v7, vcc_lo, s2, v15, vcc_lo
	v_add_co_u32 v8, vcc_lo, 0x1000, v0
	v_add_co_ci_u32_e32 v9, vcc_lo, 0, v1, vcc_lo
	;; [unrolled: 2-line block ×3, first 2 shown]
	global_store_dwordx4 v[6:7], v[2:5], off
	global_load_dwordx4 v[2:5], v[8:9], off offset:1088
	v_add_co_u32 v6, vcc_lo, 0x1800, v0
	v_add_co_ci_u32_e32 v7, vcc_lo, 0, v1, vcc_lo
	s_waitcnt vmcnt(0) lgkmcnt(0)
	v_mul_f64 v[8:9], v[12:13], v[4:5]
	v_mul_f64 v[4:5], v[10:11], v[4:5]
	v_fma_f64 v[8:9], v[10:11], v[2:3], v[8:9]
	v_fma_f64 v[4:5], v[2:3], v[12:13], -v[4:5]
	v_mul_f64 v[2:3], v[8:9], s[0:1]
	v_mul_f64 v[4:5], v[4:5], s[0:1]
	global_store_dwordx4 v[14:15], v[2:5], off
	global_load_dwordx4 v[2:5], v[6:7], off offset:768
	ds_read_b128 v[6:9], v229 offset:6912
	ds_read_b128 v[10:13], v229 offset:8640
	s_waitcnt vmcnt(0) lgkmcnt(1)
	v_mul_f64 v[16:17], v[8:9], v[4:5]
	v_mul_f64 v[4:5], v[6:7], v[4:5]
	v_fma_f64 v[6:7], v[6:7], v[2:3], v[16:17]
	v_fma_f64 v[4:5], v[2:3], v[8:9], -v[4:5]
	v_mul_f64 v[2:3], v[6:7], s[0:1]
	v_mul_f64 v[4:5], v[4:5], s[0:1]
	v_add_co_u32 v6, vcc_lo, v14, s3
	v_add_co_ci_u32_e32 v7, vcc_lo, s2, v15, vcc_lo
	v_add_co_u32 v8, vcc_lo, 0x2000, v0
	v_add_co_ci_u32_e32 v9, vcc_lo, 0, v1, vcc_lo
	;; [unrolled: 2-line block ×4, first 2 shown]
	global_store_dwordx4 v[6:7], v[2:5], off
	global_load_dwordx4 v[2:5], v[8:9], off offset:448
	s_waitcnt vmcnt(0) lgkmcnt(0)
	v_mul_f64 v[8:9], v[12:13], v[4:5]
	v_mul_f64 v[4:5], v[10:11], v[4:5]
	v_fma_f64 v[8:9], v[10:11], v[2:3], v[8:9]
	v_fma_f64 v[4:5], v[2:3], v[12:13], -v[4:5]
	v_mul_f64 v[2:3], v[8:9], s[0:1]
	v_mul_f64 v[4:5], v[4:5], s[0:1]
	global_store_dwordx4 v[14:15], v[2:5], off
	global_load_dwordx4 v[2:5], v[16:17], off offset:128
	ds_read_b128 v[6:9], v229 offset:10368
	ds_read_b128 v[10:13], v229 offset:12096
	s_waitcnt vmcnt(0) lgkmcnt(1)
	v_mul_f64 v[18:19], v[8:9], v[4:5]
	v_mul_f64 v[4:5], v[6:7], v[4:5]
	v_fma_f64 v[6:7], v[6:7], v[2:3], v[18:19]
	v_fma_f64 v[4:5], v[2:3], v[8:9], -v[4:5]
	v_mul_f64 v[2:3], v[6:7], s[0:1]
	v_mul_f64 v[4:5], v[4:5], s[0:1]
	v_add_co_u32 v6, vcc_lo, v14, s3
	v_add_co_ci_u32_e32 v7, vcc_lo, s2, v15, vcc_lo
	v_add_co_u32 v14, vcc_lo, v6, s3
	v_add_co_ci_u32_e32 v15, vcc_lo, s2, v7, vcc_lo
	global_store_dwordx4 v[6:7], v[2:5], off
	global_load_dwordx4 v[2:5], v[16:17], off offset:1856
	v_add_co_u32 v6, vcc_lo, 0x3000, v0
	v_add_co_ci_u32_e32 v7, vcc_lo, 0, v1, vcc_lo
	s_waitcnt vmcnt(0) lgkmcnt(0)
	v_mul_f64 v[8:9], v[12:13], v[4:5]
	v_mul_f64 v[4:5], v[10:11], v[4:5]
	v_fma_f64 v[8:9], v[10:11], v[2:3], v[8:9]
	v_fma_f64 v[4:5], v[2:3], v[12:13], -v[4:5]
	v_mul_f64 v[2:3], v[8:9], s[0:1]
	v_mul_f64 v[4:5], v[4:5], s[0:1]
	global_store_dwordx4 v[14:15], v[2:5], off
	global_load_dwordx4 v[2:5], v[6:7], off offset:1536
	ds_read_b128 v[6:9], v229 offset:13824
	ds_read_b128 v[10:13], v229 offset:15552
	s_waitcnt vmcnt(0) lgkmcnt(1)
	v_mul_f64 v[16:17], v[8:9], v[4:5]
	v_mul_f64 v[4:5], v[6:7], v[4:5]
	v_fma_f64 v[6:7], v[6:7], v[2:3], v[16:17]
	v_fma_f64 v[4:5], v[2:3], v[8:9], -v[4:5]
	v_mul_f64 v[2:3], v[6:7], s[0:1]
	v_mul_f64 v[4:5], v[4:5], s[0:1]
	v_add_co_u32 v6, vcc_lo, v14, s3
	v_add_co_ci_u32_e32 v7, vcc_lo, s2, v15, vcc_lo
	v_add_co_u32 v8, vcc_lo, 0x3800, v0
	v_add_co_ci_u32_e32 v9, vcc_lo, 0, v1, vcc_lo
	;; [unrolled: 2-line block ×3, first 2 shown]
	global_store_dwordx4 v[6:7], v[2:5], off
	global_load_dwordx4 v[2:5], v[8:9], off offset:1216
	v_add_co_u32 v6, vcc_lo, 0x4000, v0
	v_add_co_ci_u32_e32 v7, vcc_lo, 0, v1, vcc_lo
	s_waitcnt vmcnt(0) lgkmcnt(0)
	v_mul_f64 v[8:9], v[12:13], v[4:5]
	v_mul_f64 v[4:5], v[10:11], v[4:5]
	v_fma_f64 v[8:9], v[10:11], v[2:3], v[8:9]
	v_fma_f64 v[4:5], v[2:3], v[12:13], -v[4:5]
	v_mul_f64 v[2:3], v[8:9], s[0:1]
	v_mul_f64 v[4:5], v[4:5], s[0:1]
	global_store_dwordx4 v[14:15], v[2:5], off
	global_load_dwordx4 v[2:5], v[6:7], off offset:896
	ds_read_b128 v[6:9], v229 offset:17280
	ds_read_b128 v[10:13], v229 offset:19008
	s_waitcnt vmcnt(0) lgkmcnt(1)
	v_mul_f64 v[16:17], v[8:9], v[4:5]
	v_mul_f64 v[4:5], v[6:7], v[4:5]
	v_fma_f64 v[6:7], v[6:7], v[2:3], v[16:17]
	v_fma_f64 v[4:5], v[2:3], v[8:9], -v[4:5]
	v_mul_f64 v[2:3], v[6:7], s[0:1]
	v_mul_f64 v[4:5], v[4:5], s[0:1]
	v_add_co_u32 v6, vcc_lo, v14, s3
	v_add_co_ci_u32_e32 v7, vcc_lo, s2, v15, vcc_lo
	v_add_co_u32 v8, vcc_lo, 0x4800, v0
	v_add_co_ci_u32_e32 v9, vcc_lo, 0, v1, vcc_lo
	;; [unrolled: 2-line block ×4, first 2 shown]
	global_store_dwordx4 v[6:7], v[2:5], off
	global_load_dwordx4 v[2:5], v[8:9], off offset:576
	s_waitcnt vmcnt(0) lgkmcnt(0)
	v_mul_f64 v[8:9], v[12:13], v[4:5]
	v_mul_f64 v[4:5], v[10:11], v[4:5]
	v_fma_f64 v[8:9], v[10:11], v[2:3], v[8:9]
	v_fma_f64 v[4:5], v[2:3], v[12:13], -v[4:5]
	v_mul_f64 v[2:3], v[8:9], s[0:1]
	v_mul_f64 v[4:5], v[4:5], s[0:1]
	global_store_dwordx4 v[14:15], v[2:5], off
	global_load_dwordx4 v[2:5], v[16:17], off offset:256
	ds_read_b128 v[6:9], v229 offset:20736
	ds_read_b128 v[10:13], v229 offset:22464
	s_waitcnt vmcnt(0) lgkmcnt(1)
	v_mul_f64 v[18:19], v[8:9], v[4:5]
	v_mul_f64 v[4:5], v[6:7], v[4:5]
	v_fma_f64 v[6:7], v[6:7], v[2:3], v[18:19]
	v_fma_f64 v[4:5], v[2:3], v[8:9], -v[4:5]
	v_mul_f64 v[2:3], v[6:7], s[0:1]
	v_mul_f64 v[4:5], v[4:5], s[0:1]
	v_add_co_u32 v6, vcc_lo, v14, s3
	v_add_co_ci_u32_e32 v7, vcc_lo, s2, v15, vcc_lo
	v_add_co_u32 v14, vcc_lo, v6, s3
	v_add_co_ci_u32_e32 v15, vcc_lo, s2, v7, vcc_lo
	global_store_dwordx4 v[6:7], v[2:5], off
	global_load_dwordx4 v[2:5], v[16:17], off offset:1984
	v_add_co_u32 v6, vcc_lo, 0x5800, v0
	v_add_co_ci_u32_e32 v7, vcc_lo, 0, v1, vcc_lo
	s_waitcnt vmcnt(0) lgkmcnt(0)
	v_mul_f64 v[8:9], v[12:13], v[4:5]
	v_mul_f64 v[4:5], v[10:11], v[4:5]
	v_fma_f64 v[8:9], v[10:11], v[2:3], v[8:9]
	v_fma_f64 v[4:5], v[2:3], v[12:13], -v[4:5]
	v_mul_f64 v[2:3], v[8:9], s[0:1]
	v_mul_f64 v[4:5], v[4:5], s[0:1]
	global_store_dwordx4 v[14:15], v[2:5], off
	global_load_dwordx4 v[2:5], v[6:7], off offset:1664
	ds_read_b128 v[6:9], v229 offset:24192
	ds_read_b128 v[10:13], v229 offset:25920
	s_waitcnt vmcnt(0) lgkmcnt(1)
	v_mul_f64 v[16:17], v[8:9], v[4:5]
	v_mul_f64 v[4:5], v[6:7], v[4:5]
	v_fma_f64 v[6:7], v[6:7], v[2:3], v[16:17]
	v_fma_f64 v[4:5], v[2:3], v[8:9], -v[4:5]
	v_mul_f64 v[2:3], v[6:7], s[0:1]
	v_mul_f64 v[4:5], v[4:5], s[0:1]
	v_add_co_u32 v6, vcc_lo, v14, s3
	v_add_co_ci_u32_e32 v7, vcc_lo, s2, v15, vcc_lo
	v_add_co_u32 v8, vcc_lo, 0x6000, v0
	v_add_co_ci_u32_e32 v9, vcc_lo, 0, v1, vcc_lo
	global_store_dwordx4 v[6:7], v[2:5], off
	global_load_dwordx4 v[2:5], v[8:9], off offset:1344
	s_waitcnt vmcnt(0) lgkmcnt(0)
	v_mul_f64 v[8:9], v[12:13], v[4:5]
	v_mul_f64 v[4:5], v[10:11], v[4:5]
	v_fma_f64 v[8:9], v[10:11], v[2:3], v[8:9]
	v_fma_f64 v[4:5], v[2:3], v[12:13], -v[4:5]
	v_mul_f64 v[2:3], v[8:9], s[0:1]
	v_mul_f64 v[4:5], v[4:5], s[0:1]
	v_add_co_u32 v8, vcc_lo, v6, s3
	v_add_co_ci_u32_e32 v9, vcc_lo, s2, v7, vcc_lo
	v_add_co_u32 v0, vcc_lo, 0x6800, v0
	v_add_co_ci_u32_e32 v1, vcc_lo, 0, v1, vcc_lo
	global_store_dwordx4 v[8:9], v[2:5], off
	global_load_dwordx4 v[0:3], v[0:1], off offset:1024
	ds_read_b128 v[4:7], v229 offset:27648
	s_waitcnt vmcnt(0) lgkmcnt(0)
	v_mul_f64 v[10:11], v[6:7], v[2:3]
	v_mul_f64 v[2:3], v[4:5], v[2:3]
	v_fma_f64 v[4:5], v[4:5], v[0:1], v[10:11]
	v_fma_f64 v[2:3], v[0:1], v[6:7], -v[2:3]
	v_mul_f64 v[0:1], v[4:5], s[0:1]
	v_mul_f64 v[2:3], v[2:3], s[0:1]
	v_add_co_u32 v4, vcc_lo, v8, s3
	v_add_co_ci_u32_e32 v5, vcc_lo, s2, v9, vcc_lo
	global_store_dwordx4 v[4:5], v[0:3], off
.LBB0_15:
	s_endpgm
	.section	.rodata,"a",@progbits
	.p2align	6, 0x0
	.amdhsa_kernel bluestein_single_fwd_len1836_dim1_dp_op_CI_CI
		.amdhsa_group_segment_fixed_size 29376
		.amdhsa_private_segment_fixed_size 308
		.amdhsa_kernarg_size 104
		.amdhsa_user_sgpr_count 6
		.amdhsa_user_sgpr_private_segment_buffer 1
		.amdhsa_user_sgpr_dispatch_ptr 0
		.amdhsa_user_sgpr_queue_ptr 0
		.amdhsa_user_sgpr_kernarg_segment_ptr 1
		.amdhsa_user_sgpr_dispatch_id 0
		.amdhsa_user_sgpr_flat_scratch_init 0
		.amdhsa_user_sgpr_private_segment_size 0
		.amdhsa_wavefront_size32 1
		.amdhsa_uses_dynamic_stack 0
		.amdhsa_system_sgpr_private_segment_wavefront_offset 1
		.amdhsa_system_sgpr_workgroup_id_x 1
		.amdhsa_system_sgpr_workgroup_id_y 0
		.amdhsa_system_sgpr_workgroup_id_z 0
		.amdhsa_system_sgpr_workgroup_info 0
		.amdhsa_system_vgpr_workitem_id 0
		.amdhsa_next_free_vgpr 256
		.amdhsa_next_free_sgpr 64
		.amdhsa_reserve_vcc 1
		.amdhsa_reserve_flat_scratch 0
		.amdhsa_float_round_mode_32 0
		.amdhsa_float_round_mode_16_64 0
		.amdhsa_float_denorm_mode_32 3
		.amdhsa_float_denorm_mode_16_64 3
		.amdhsa_dx10_clamp 1
		.amdhsa_ieee_mode 1
		.amdhsa_fp16_overflow 0
		.amdhsa_workgroup_processor_mode 1
		.amdhsa_memory_ordered 1
		.amdhsa_forward_progress 0
		.amdhsa_shared_vgpr_count 0
		.amdhsa_exception_fp_ieee_invalid_op 0
		.amdhsa_exception_fp_denorm_src 0
		.amdhsa_exception_fp_ieee_div_zero 0
		.amdhsa_exception_fp_ieee_overflow 0
		.amdhsa_exception_fp_ieee_underflow 0
		.amdhsa_exception_fp_ieee_inexact 0
		.amdhsa_exception_int_div_zero 0
	.end_amdhsa_kernel
	.text
.Lfunc_end0:
	.size	bluestein_single_fwd_len1836_dim1_dp_op_CI_CI, .Lfunc_end0-bluestein_single_fwd_len1836_dim1_dp_op_CI_CI
                                        ; -- End function
	.section	.AMDGPU.csdata,"",@progbits
; Kernel info:
; codeLenInByte = 29796
; NumSgprs: 66
; NumVgprs: 256
; ScratchSize: 308
; MemoryBound: 0
; FloatMode: 240
; IeeeMode: 1
; LDSByteSize: 29376 bytes/workgroup (compile time only)
; SGPRBlocks: 8
; VGPRBlocks: 31
; NumSGPRsForWavesPerEU: 66
; NumVGPRsForWavesPerEU: 256
; Occupancy: 4
; WaveLimiterHint : 1
; COMPUTE_PGM_RSRC2:SCRATCH_EN: 1
; COMPUTE_PGM_RSRC2:USER_SGPR: 6
; COMPUTE_PGM_RSRC2:TRAP_HANDLER: 0
; COMPUTE_PGM_RSRC2:TGID_X_EN: 1
; COMPUTE_PGM_RSRC2:TGID_Y_EN: 0
; COMPUTE_PGM_RSRC2:TGID_Z_EN: 0
; COMPUTE_PGM_RSRC2:TIDIG_COMP_CNT: 0
	.text
	.p2alignl 6, 3214868480
	.fill 48, 4, 3214868480
	.type	__hip_cuid_8dcb5075cbcdd794,@object ; @__hip_cuid_8dcb5075cbcdd794
	.section	.bss,"aw",@nobits
	.globl	__hip_cuid_8dcb5075cbcdd794
__hip_cuid_8dcb5075cbcdd794:
	.byte	0                               ; 0x0
	.size	__hip_cuid_8dcb5075cbcdd794, 1

	.ident	"AMD clang version 19.0.0git (https://github.com/RadeonOpenCompute/llvm-project roc-6.4.0 25133 c7fe45cf4b819c5991fe208aaa96edf142730f1d)"
	.section	".note.GNU-stack","",@progbits
	.addrsig
	.addrsig_sym __hip_cuid_8dcb5075cbcdd794
	.amdgpu_metadata
---
amdhsa.kernels:
  - .args:
      - .actual_access:  read_only
        .address_space:  global
        .offset:         0
        .size:           8
        .value_kind:     global_buffer
      - .actual_access:  read_only
        .address_space:  global
        .offset:         8
        .size:           8
        .value_kind:     global_buffer
      - .actual_access:  read_only
        .address_space:  global
        .offset:         16
        .size:           8
        .value_kind:     global_buffer
      - .actual_access:  read_only
        .address_space:  global
        .offset:         24
        .size:           8
        .value_kind:     global_buffer
      - .actual_access:  read_only
        .address_space:  global
        .offset:         32
        .size:           8
        .value_kind:     global_buffer
      - .offset:         40
        .size:           8
        .value_kind:     by_value
      - .address_space:  global
        .offset:         48
        .size:           8
        .value_kind:     global_buffer
      - .address_space:  global
        .offset:         56
        .size:           8
        .value_kind:     global_buffer
      - .address_space:  global
        .offset:         64
        .size:           8
        .value_kind:     global_buffer
      - .address_space:  global
        .offset:         72
        .size:           8
        .value_kind:     global_buffer
      - .offset:         80
        .size:           4
        .value_kind:     by_value
      - .address_space:  global
        .offset:         88
        .size:           8
        .value_kind:     global_buffer
      - .address_space:  global
        .offset:         96
        .size:           8
        .value_kind:     global_buffer
    .group_segment_fixed_size: 29376
    .kernarg_segment_align: 8
    .kernarg_segment_size: 104
    .language:       OpenCL C
    .language_version:
      - 2
      - 0
    .max_flat_workgroup_size: 153
    .name:           bluestein_single_fwd_len1836_dim1_dp_op_CI_CI
    .private_segment_fixed_size: 308
    .sgpr_count:     66
    .sgpr_spill_count: 0
    .symbol:         bluestein_single_fwd_len1836_dim1_dp_op_CI_CI.kd
    .uniform_work_group_size: 1
    .uses_dynamic_stack: false
    .vgpr_count:     256
    .vgpr_spill_count: 116
    .wavefront_size: 32
    .workgroup_processor_mode: 1
amdhsa.target:   amdgcn-amd-amdhsa--gfx1030
amdhsa.version:
  - 1
  - 2
...

	.end_amdgpu_metadata
